;; amdgpu-corpus repo=ROCm/rocFFT kind=compiled arch=gfx1100 opt=O3
	.text
	.amdgcn_target "amdgcn-amd-amdhsa--gfx1100"
	.amdhsa_code_object_version 6
	.protected	fft_rtc_fwd_len1925_factors_7_11_5_5_wgs_55_tpt_55_halfLds_sp_ip_CI_unitstride_sbrr_dirReg ; -- Begin function fft_rtc_fwd_len1925_factors_7_11_5_5_wgs_55_tpt_55_halfLds_sp_ip_CI_unitstride_sbrr_dirReg
	.globl	fft_rtc_fwd_len1925_factors_7_11_5_5_wgs_55_tpt_55_halfLds_sp_ip_CI_unitstride_sbrr_dirReg
	.p2align	8
	.type	fft_rtc_fwd_len1925_factors_7_11_5_5_wgs_55_tpt_55_halfLds_sp_ip_CI_unitstride_sbrr_dirReg,@function
fft_rtc_fwd_len1925_factors_7_11_5_5_wgs_55_tpt_55_halfLds_sp_ip_CI_unitstride_sbrr_dirReg: ; @fft_rtc_fwd_len1925_factors_7_11_5_5_wgs_55_tpt_55_halfLds_sp_ip_CI_unitstride_sbrr_dirReg
; %bb.0:
	s_clause 0x2
	s_load_b128 s[4:7], s[0:1], 0x0
	s_load_b64 s[8:9], s[0:1], 0x50
	s_load_b64 s[10:11], s[0:1], 0x18
	v_mul_u32_u24_e32 v1, 0x4a8, v0
	v_mov_b32_e32 v3, 0
	s_delay_alu instid0(VALU_DEP_2) | instskip(NEXT) | instid1(VALU_DEP_1)
	v_lshrrev_b32_e32 v1, 16, v1
	v_add_nc_u32_e32 v5, s15, v1
	v_mov_b32_e32 v1, 0
	v_mov_b32_e32 v2, 0
	;; [unrolled: 1-line block ×3, first 2 shown]
	s_waitcnt lgkmcnt(0)
	v_cmp_lt_u64_e64 s2, s[6:7], 2
	s_delay_alu instid0(VALU_DEP_1)
	s_and_b32 vcc_lo, exec_lo, s2
	s_cbranch_vccnz .LBB0_8
; %bb.1:
	s_load_b64 s[2:3], s[0:1], 0x10
	v_mov_b32_e32 v1, 0
	s_add_u32 s12, s10, 8
	v_mov_b32_e32 v2, 0
	s_addc_u32 s13, s11, 0
	s_mov_b64 s[16:17], 1
	s_waitcnt lgkmcnt(0)
	s_add_u32 s14, s2, 8
	s_addc_u32 s15, s3, 0
.LBB0_2:                                ; =>This Inner Loop Header: Depth=1
	s_load_b64 s[18:19], s[14:15], 0x0
                                        ; implicit-def: $vgpr8_vgpr9
	s_mov_b32 s2, exec_lo
	s_waitcnt lgkmcnt(0)
	v_or_b32_e32 v4, s19, v6
	s_delay_alu instid0(VALU_DEP_1)
	v_cmpx_ne_u64_e32 0, v[3:4]
	s_xor_b32 s3, exec_lo, s2
	s_cbranch_execz .LBB0_4
; %bb.3:                                ;   in Loop: Header=BB0_2 Depth=1
	v_cvt_f32_u32_e32 v4, s18
	v_cvt_f32_u32_e32 v7, s19
	s_sub_u32 s2, 0, s18
	s_subb_u32 s20, 0, s19
	s_delay_alu instid0(VALU_DEP_1) | instskip(NEXT) | instid1(VALU_DEP_1)
	v_fmac_f32_e32 v4, 0x4f800000, v7
	v_rcp_f32_e32 v4, v4
	s_waitcnt_depctr 0xfff
	v_mul_f32_e32 v4, 0x5f7ffffc, v4
	s_delay_alu instid0(VALU_DEP_1) | instskip(NEXT) | instid1(VALU_DEP_1)
	v_mul_f32_e32 v7, 0x2f800000, v4
	v_trunc_f32_e32 v7, v7
	s_delay_alu instid0(VALU_DEP_1) | instskip(SKIP_1) | instid1(VALU_DEP_2)
	v_fmac_f32_e32 v4, 0xcf800000, v7
	v_cvt_u32_f32_e32 v7, v7
	v_cvt_u32_f32_e32 v4, v4
	s_delay_alu instid0(VALU_DEP_2) | instskip(NEXT) | instid1(VALU_DEP_2)
	v_mul_lo_u32 v8, s2, v7
	v_mul_hi_u32 v9, s2, v4
	v_mul_lo_u32 v10, s20, v4
	s_delay_alu instid0(VALU_DEP_2) | instskip(SKIP_1) | instid1(VALU_DEP_2)
	v_add_nc_u32_e32 v8, v9, v8
	v_mul_lo_u32 v9, s2, v4
	v_add_nc_u32_e32 v8, v8, v10
	s_delay_alu instid0(VALU_DEP_2) | instskip(NEXT) | instid1(VALU_DEP_2)
	v_mul_hi_u32 v10, v4, v9
	v_mul_lo_u32 v11, v4, v8
	v_mul_hi_u32 v12, v4, v8
	v_mul_hi_u32 v13, v7, v9
	v_mul_lo_u32 v9, v7, v9
	v_mul_hi_u32 v14, v7, v8
	v_mul_lo_u32 v8, v7, v8
	v_add_co_u32 v10, vcc_lo, v10, v11
	v_add_co_ci_u32_e32 v11, vcc_lo, 0, v12, vcc_lo
	s_delay_alu instid0(VALU_DEP_2) | instskip(NEXT) | instid1(VALU_DEP_2)
	v_add_co_u32 v9, vcc_lo, v10, v9
	v_add_co_ci_u32_e32 v9, vcc_lo, v11, v13, vcc_lo
	v_add_co_ci_u32_e32 v10, vcc_lo, 0, v14, vcc_lo
	s_delay_alu instid0(VALU_DEP_2) | instskip(NEXT) | instid1(VALU_DEP_2)
	v_add_co_u32 v8, vcc_lo, v9, v8
	v_add_co_ci_u32_e32 v9, vcc_lo, 0, v10, vcc_lo
	s_delay_alu instid0(VALU_DEP_2) | instskip(NEXT) | instid1(VALU_DEP_2)
	v_add_co_u32 v4, vcc_lo, v4, v8
	v_add_co_ci_u32_e32 v7, vcc_lo, v7, v9, vcc_lo
	s_delay_alu instid0(VALU_DEP_2) | instskip(SKIP_1) | instid1(VALU_DEP_3)
	v_mul_hi_u32 v8, s2, v4
	v_mul_lo_u32 v10, s20, v4
	v_mul_lo_u32 v9, s2, v7
	s_delay_alu instid0(VALU_DEP_1) | instskip(SKIP_1) | instid1(VALU_DEP_2)
	v_add_nc_u32_e32 v8, v8, v9
	v_mul_lo_u32 v9, s2, v4
	v_add_nc_u32_e32 v8, v8, v10
	s_delay_alu instid0(VALU_DEP_2) | instskip(NEXT) | instid1(VALU_DEP_2)
	v_mul_hi_u32 v10, v4, v9
	v_mul_lo_u32 v11, v4, v8
	v_mul_hi_u32 v12, v4, v8
	v_mul_hi_u32 v13, v7, v9
	v_mul_lo_u32 v9, v7, v9
	v_mul_hi_u32 v14, v7, v8
	v_mul_lo_u32 v8, v7, v8
	v_add_co_u32 v10, vcc_lo, v10, v11
	v_add_co_ci_u32_e32 v11, vcc_lo, 0, v12, vcc_lo
	s_delay_alu instid0(VALU_DEP_2) | instskip(NEXT) | instid1(VALU_DEP_2)
	v_add_co_u32 v9, vcc_lo, v10, v9
	v_add_co_ci_u32_e32 v9, vcc_lo, v11, v13, vcc_lo
	v_add_co_ci_u32_e32 v10, vcc_lo, 0, v14, vcc_lo
	s_delay_alu instid0(VALU_DEP_2) | instskip(NEXT) | instid1(VALU_DEP_2)
	v_add_co_u32 v8, vcc_lo, v9, v8
	v_add_co_ci_u32_e32 v9, vcc_lo, 0, v10, vcc_lo
	s_delay_alu instid0(VALU_DEP_2) | instskip(NEXT) | instid1(VALU_DEP_2)
	v_add_co_u32 v4, vcc_lo, v4, v8
	v_add_co_ci_u32_e32 v13, vcc_lo, v7, v9, vcc_lo
	s_delay_alu instid0(VALU_DEP_2) | instskip(SKIP_1) | instid1(VALU_DEP_3)
	v_mul_hi_u32 v14, v5, v4
	v_mad_u64_u32 v[9:10], null, v6, v4, 0
	v_mad_u64_u32 v[7:8], null, v5, v13, 0
	;; [unrolled: 1-line block ×3, first 2 shown]
	s_delay_alu instid0(VALU_DEP_2) | instskip(NEXT) | instid1(VALU_DEP_3)
	v_add_co_u32 v4, vcc_lo, v14, v7
	v_add_co_ci_u32_e32 v7, vcc_lo, 0, v8, vcc_lo
	s_delay_alu instid0(VALU_DEP_2) | instskip(NEXT) | instid1(VALU_DEP_2)
	v_add_co_u32 v4, vcc_lo, v4, v9
	v_add_co_ci_u32_e32 v4, vcc_lo, v7, v10, vcc_lo
	v_add_co_ci_u32_e32 v7, vcc_lo, 0, v12, vcc_lo
	s_delay_alu instid0(VALU_DEP_2) | instskip(NEXT) | instid1(VALU_DEP_2)
	v_add_co_u32 v4, vcc_lo, v4, v11
	v_add_co_ci_u32_e32 v9, vcc_lo, 0, v7, vcc_lo
	s_delay_alu instid0(VALU_DEP_2) | instskip(SKIP_1) | instid1(VALU_DEP_3)
	v_mul_lo_u32 v10, s19, v4
	v_mad_u64_u32 v[7:8], null, s18, v4, 0
	v_mul_lo_u32 v11, s18, v9
	s_delay_alu instid0(VALU_DEP_2) | instskip(NEXT) | instid1(VALU_DEP_2)
	v_sub_co_u32 v7, vcc_lo, v5, v7
	v_add3_u32 v8, v8, v11, v10
	s_delay_alu instid0(VALU_DEP_1) | instskip(NEXT) | instid1(VALU_DEP_1)
	v_sub_nc_u32_e32 v10, v6, v8
	v_subrev_co_ci_u32_e64 v10, s2, s19, v10, vcc_lo
	v_add_co_u32 v11, s2, v4, 2
	s_delay_alu instid0(VALU_DEP_1) | instskip(SKIP_3) | instid1(VALU_DEP_3)
	v_add_co_ci_u32_e64 v12, s2, 0, v9, s2
	v_sub_co_u32 v13, s2, v7, s18
	v_sub_co_ci_u32_e32 v8, vcc_lo, v6, v8, vcc_lo
	v_subrev_co_ci_u32_e64 v10, s2, 0, v10, s2
	v_cmp_le_u32_e32 vcc_lo, s18, v13
	s_delay_alu instid0(VALU_DEP_3) | instskip(SKIP_1) | instid1(VALU_DEP_4)
	v_cmp_eq_u32_e64 s2, s19, v8
	v_cndmask_b32_e64 v13, 0, -1, vcc_lo
	v_cmp_le_u32_e32 vcc_lo, s19, v10
	v_cndmask_b32_e64 v14, 0, -1, vcc_lo
	v_cmp_le_u32_e32 vcc_lo, s18, v7
	;; [unrolled: 2-line block ×3, first 2 shown]
	v_cndmask_b32_e64 v15, 0, -1, vcc_lo
	v_cmp_eq_u32_e32 vcc_lo, s19, v10
	s_delay_alu instid0(VALU_DEP_2) | instskip(SKIP_3) | instid1(VALU_DEP_3)
	v_cndmask_b32_e64 v7, v15, v7, s2
	v_cndmask_b32_e32 v10, v14, v13, vcc_lo
	v_add_co_u32 v13, vcc_lo, v4, 1
	v_add_co_ci_u32_e32 v14, vcc_lo, 0, v9, vcc_lo
	v_cmp_ne_u32_e32 vcc_lo, 0, v10
	s_delay_alu instid0(VALU_DEP_2) | instskip(NEXT) | instid1(VALU_DEP_4)
	v_cndmask_b32_e32 v8, v14, v12, vcc_lo
	v_cndmask_b32_e32 v10, v13, v11, vcc_lo
	v_cmp_ne_u32_e32 vcc_lo, 0, v7
	s_delay_alu instid0(VALU_DEP_2)
	v_dual_cndmask_b32 v9, v9, v8 :: v_dual_cndmask_b32 v8, v4, v10
.LBB0_4:                                ;   in Loop: Header=BB0_2 Depth=1
	s_and_not1_saveexec_b32 s2, s3
	s_cbranch_execz .LBB0_6
; %bb.5:                                ;   in Loop: Header=BB0_2 Depth=1
	v_cvt_f32_u32_e32 v4, s18
	s_sub_i32 s3, 0, s18
	s_delay_alu instid0(VALU_DEP_1) | instskip(SKIP_2) | instid1(VALU_DEP_1)
	v_rcp_iflag_f32_e32 v4, v4
	s_waitcnt_depctr 0xfff
	v_mul_f32_e32 v4, 0x4f7ffffe, v4
	v_cvt_u32_f32_e32 v4, v4
	s_delay_alu instid0(VALU_DEP_1) | instskip(NEXT) | instid1(VALU_DEP_1)
	v_mul_lo_u32 v7, s3, v4
	v_mul_hi_u32 v7, v4, v7
	s_delay_alu instid0(VALU_DEP_1) | instskip(NEXT) | instid1(VALU_DEP_1)
	v_add_nc_u32_e32 v4, v4, v7
	v_mul_hi_u32 v4, v5, v4
	s_delay_alu instid0(VALU_DEP_1) | instskip(SKIP_1) | instid1(VALU_DEP_2)
	v_mul_lo_u32 v7, v4, s18
	v_add_nc_u32_e32 v8, 1, v4
	v_sub_nc_u32_e32 v7, v5, v7
	s_delay_alu instid0(VALU_DEP_1) | instskip(SKIP_1) | instid1(VALU_DEP_2)
	v_subrev_nc_u32_e32 v9, s18, v7
	v_cmp_le_u32_e32 vcc_lo, s18, v7
	v_cndmask_b32_e32 v7, v7, v9, vcc_lo
	v_dual_mov_b32 v9, v3 :: v_dual_cndmask_b32 v4, v4, v8
	s_delay_alu instid0(VALU_DEP_2) | instskip(NEXT) | instid1(VALU_DEP_2)
	v_cmp_le_u32_e32 vcc_lo, s18, v7
	v_add_nc_u32_e32 v8, 1, v4
	s_delay_alu instid0(VALU_DEP_1)
	v_cndmask_b32_e32 v8, v4, v8, vcc_lo
.LBB0_6:                                ;   in Loop: Header=BB0_2 Depth=1
	s_or_b32 exec_lo, exec_lo, s2
	s_load_b64 s[2:3], s[12:13], 0x0
	v_mul_lo_u32 v4, v9, s18
	s_delay_alu instid0(VALU_DEP_2)
	v_mul_lo_u32 v7, v8, s19
	v_mad_u64_u32 v[10:11], null, v8, s18, 0
	s_add_u32 s16, s16, 1
	s_addc_u32 s17, s17, 0
	s_add_u32 s12, s12, 8
	s_addc_u32 s13, s13, 0
	;; [unrolled: 2-line block ×3, first 2 shown]
	s_delay_alu instid0(VALU_DEP_1) | instskip(SKIP_1) | instid1(VALU_DEP_2)
	v_add3_u32 v4, v11, v7, v4
	v_sub_co_u32 v7, vcc_lo, v5, v10
	v_sub_co_ci_u32_e32 v4, vcc_lo, v6, v4, vcc_lo
	s_waitcnt lgkmcnt(0)
	s_delay_alu instid0(VALU_DEP_2) | instskip(NEXT) | instid1(VALU_DEP_2)
	v_mul_lo_u32 v10, s3, v7
	v_mul_lo_u32 v6, s2, v4
	v_mad_u64_u32 v[4:5], null, s2, v7, v[1:2]
	v_cmp_ge_u64_e64 s2, s[16:17], s[6:7]
	s_delay_alu instid0(VALU_DEP_1) | instskip(NEXT) | instid1(VALU_DEP_2)
	s_and_b32 vcc_lo, exec_lo, s2
	v_add3_u32 v2, v10, v5, v6
	s_delay_alu instid0(VALU_DEP_3)
	v_mov_b32_e32 v1, v4
	s_cbranch_vccnz .LBB0_9
; %bb.7:                                ;   in Loop: Header=BB0_2 Depth=1
	v_dual_mov_b32 v5, v8 :: v_dual_mov_b32 v6, v9
	s_branch .LBB0_2
.LBB0_8:
	v_dual_mov_b32 v9, v6 :: v_dual_mov_b32 v8, v5
.LBB0_9:
	s_lshl_b64 s[2:3], s[6:7], 3
	s_load_b64 s[0:1], s[0:1], 0x20
	s_add_u32 s2, s10, s2
	s_addc_u32 s3, s11, s3
	v_mul_hi_u32 v3, 0x4a7904b, v0
	s_load_b64 s[2:3], s[2:3], 0x0
	v_mov_b32_e32 v102, 0
	v_mov_b32_e32 v103, 0
	s_delay_alu instid0(VALU_DEP_2) | instskip(SKIP_2) | instid1(VALU_DEP_4)
	v_mov_b32_e32 v100, v102
	v_mov_b32_e32 v88, v102
	;; [unrolled: 1-line block ×3, first 2 shown]
	v_dual_mov_b32 v90, v102 :: v_dual_mov_b32 v91, v103
	v_dual_mov_b32 v109, v103 :: v_dual_mov_b32 v108, v102
	;; [unrolled: 1-line block ×3, first 2 shown]
	v_mov_b32_e32 v101, v103
	v_mov_b32_e32 v89, v103
	v_dual_mov_b32 v83, v103 :: v_dual_mov_b32 v86, v102
	v_mov_b32_e32 v87, v103
	s_waitcnt lgkmcnt(0)
	v_cmp_gt_u64_e32 vcc_lo, s[0:1], v[8:9]
	v_dual_mov_b32 v72, v102 :: v_dual_mov_b32 v73, v103
	v_mul_lo_u32 v6, s2, v9
	v_mul_lo_u32 v7, s3, v8
	v_mad_u64_u32 v[4:5], null, s2, v8, v[1:2]
	v_mul_u32_u24_e32 v1, 55, v3
	v_dual_mov_b32 v76, v102 :: v_dual_mov_b32 v77, v103
	v_dual_mov_b32 v78, v102 :: v_dual_mov_b32 v79, v103
	;; [unrolled: 1-line block ×3, first 2 shown]
	v_add3_u32 v5, v7, v5, v6
	v_dual_mov_b32 v60, v102 :: v_dual_mov_b32 v61, v103
	v_dual_mov_b32 v62, v102 :: v_dual_mov_b32 v63, v103
	s_delay_alu instid0(VALU_DEP_3)
	v_lshlrev_b64 v[26:27], 3, v[4:5]
	v_dual_mov_b32 v66, v102 :: v_dual_mov_b32 v67, v103
	v_dual_mov_b32 v54, v102 :: v_dual_mov_b32 v55, v103
	;; [unrolled: 1-line block ×4, first 2 shown]
	v_sub_nc_u32_e32 v24, v0, v1
	v_dual_mov_b32 v52, v102 :: v_dual_mov_b32 v53, v103
	v_dual_mov_b32 v0, v102 :: v_dual_mov_b32 v1, v103
                                        ; implicit-def: $vgpr111
                                        ; implicit-def: $vgpr113
                                        ; implicit-def: $vgpr97
                                        ; implicit-def: $vgpr95
                                        ; implicit-def: $vgpr75
                                        ; implicit-def: $vgpr69
                                        ; implicit-def: $vgpr81
                                        ; implicit-def: $vgpr59
                                        ; implicit-def: $vgpr65
                                        ; implicit-def: $vgpr57
                                        ; implicit-def: $vgpr99
                                        ; implicit-def: $vgpr85
                                        ; implicit-def: $vgpr93
                                        ; implicit-def: $vgpr107
                                        ; implicit-def: $vgpr115
	s_and_saveexec_b32 s1, vcc_lo
	s_cbranch_execz .LBB0_11
; %bb.10:
	v_mov_b32_e32 v25, 0
	v_add_co_u32 v2, s0, s8, v26
	s_delay_alu instid0(VALU_DEP_1) | instskip(NEXT) | instid1(VALU_DEP_3)
	v_add_co_ci_u32_e64 v3, s0, s9, v27, s0
	v_lshlrev_b64 v[0:1], 3, v[24:25]
	s_delay_alu instid0(VALU_DEP_1) | instskip(NEXT) | instid1(VALU_DEP_1)
	v_add_co_u32 v2, s0, v2, v0
	v_add_co_ci_u32_e64 v3, s0, v3, v1, s0
	s_delay_alu instid0(VALU_DEP_2) | instskip(NEXT) | instid1(VALU_DEP_1)
	v_add_co_u32 v4, s0, 0x1000, v2
	v_add_co_ci_u32_e64 v5, s0, 0, v3, s0
	v_add_co_u32 v8, s0, 0x3000, v2
	s_delay_alu instid0(VALU_DEP_1) | instskip(SKIP_1) | instid1(VALU_DEP_1)
	v_add_co_ci_u32_e64 v9, s0, 0, v3, s0
	v_add_co_u32 v10, s0, 0x2000, v2
	v_add_co_ci_u32_e64 v11, s0, 0, v3, s0
	s_clause 0x1f
	global_load_b64 v[82:83], v[4:5], off offset:744
	global_load_b64 v[94:95], v[8:9], off offset:1352
	global_load_b64 v[88:89], v[2:3], off offset:2640
	global_load_b64 v[72:73], v[2:3], off offset:3080
	global_load_b64 v[96:97], v[10:11], off offset:3248
	global_load_b64 v[84:85], v[10:11], off offset:3688
	global_load_b64 v[100:101], v[2:3], off
	global_load_b64 v[86:87], v[2:3], off offset:440
	global_load_b64 v[70:71], v[2:3], off offset:880
	;; [unrolled: 1-line block ×25, first 2 shown]
	s_clause 0x2
	global_load_b64 v[98:99], v[8:9], off offset:1792
	global_load_b64 v[80:81], v[8:9], off offset:2232
	;; [unrolled: 1-line block ×3, first 2 shown]
.LBB0_11:
	s_or_b32 exec_lo, exec_lo, s1
	s_waitcnt vmcnt(30)
	v_dual_add_f32 v4, v94, v88 :: v_dual_add_f32 v5, v96, v82
	s_waitcnt vmcnt(10)
	v_dual_sub_f32 v8, v89, v95 :: v_dual_add_f32 v9, v106, v90
	v_sub_f32_e32 v10, v83, v97
	s_delay_alu instid0(VALU_DEP_3) | instskip(NEXT) | instid1(VALU_DEP_3)
	v_dual_sub_f32 v11, v91, v107 :: v_dual_add_f32 v12, v4, v5
	v_dual_sub_f32 v13, v5, v4 :: v_dual_sub_f32 v14, v4, v9
	s_delay_alu instid0(VALU_DEP_2) | instskip(NEXT) | instid1(VALU_DEP_3)
	v_dual_sub_f32 v4, v9, v5 :: v_dual_add_f32 v5, v10, v11
	v_dual_add_f32 v9, v12, v9 :: v_dual_sub_f32 v12, v11, v10
	v_dual_sub_f32 v10, v10, v8 :: v_dual_sub_f32 v11, v8, v11
	s_delay_alu instid0(VALU_DEP_3) | instskip(NEXT) | instid1(VALU_DEP_3)
	v_dual_add_f32 v8, v8, v5 :: v_dual_mul_f32 v5, 0x3f4a47b2, v14
	v_dual_add_f32 v15, v9, v86 :: v_dual_mul_f32 v12, 0xbf08b237, v12
	s_waitcnt vmcnt(2)
	v_add_f32_e32 v18, v98, v72
	v_mad_u32_u24 v86, v24, 28, 0
	s_delay_alu instid0(VALU_DEP_3) | instskip(SKIP_2) | instid1(VALU_DEP_4)
	v_dual_sub_f32 v22, v79, v93 :: v_dual_fmamk_f32 v9, v9, 0xbf955555, v15
	v_mul_f32_e32 v17, 0x3d64c772, v4
	v_fma_f32 v4, 0xbf3bfb3b, v13, -v5
	v_add_nc_u32_e32 v117, 0x614, v86
	v_add_nc_u32_e32 v120, 0x1214, v86
	v_sub_f32_e32 v32, v109, v113
	v_sub_f32_e32 v34, v103, v115
	v_add_f32_e32 v4, v4, v9
	v_fma_f32 v13, 0x3f3bfb3b, v13, -v17
	v_mul_f32_e32 v16, 0x3f5ff5aa, v10
	v_fma_f32 v10, 0x3f5ff5aa, v10, -v12
	v_fmamk_f32 v14, v14, 0x3f4a47b2, v17
	s_delay_alu instid0(VALU_DEP_4) | instskip(NEXT) | instid1(VALU_DEP_4)
	v_dual_add_f32 v13, v13, v9 :: v_dual_add_nc_u32 v126, 0x604, v86
	v_fma_f32 v5, 0xbeae86e6, v11, -v16
	v_add_f32_e32 v19, v84, v76
	v_fmac_f32_e32 v10, 0x3ee1c552, v8
	v_cmp_gt_u32_e64 s0, 10, v24
                                        ; implicit-def: $vgpr124
	v_add_nc_u32_e32 v118, 0xc10, v86
	v_add_nc_u32_e32 v119, 0x120c, v86
	v_add_f32_e32 v21, v18, v19
	v_dual_fmac_f32 v5, 0x3ee1c552, v8 :: v_dual_sub_f32 v20, v13, v10
	v_add_f32_e32 v10, v13, v10
	v_add_f32_e32 v13, v92, v78
	v_add_nc_u32_e32 v116, 0x60c, v86
	s_delay_alu instid0(VALU_DEP_4)
	v_add_f32_e32 v16, v4, v5
	v_sub_f32_e32 v4, v4, v5
	v_sub_f32_e32 v5, v77, v85
	;; [unrolled: 1-line block ×3, first 2 shown]
	v_add_f32_e32 v21, v21, v13
	v_sub_f32_e32 v25, v73, v99
	s_delay_alu instid0(VALU_DEP_4) | instskip(NEXT) | instid1(VALU_DEP_3)
	v_dual_sub_f32 v13, v18, v13 :: v_dual_add_f32 v30, v5, v22
	v_dual_mul_f32 v23, 0x3d64c772, v23 :: v_dual_add_f32 v28, v21, v70
	v_dual_sub_f32 v18, v19, v18 :: v_dual_sub_f32 v29, v22, v5
	s_delay_alu instid0(VALU_DEP_4) | instskip(SKIP_1) | instid1(VALU_DEP_4)
	v_sub_f32_e32 v22, v25, v22
	v_dual_sub_f32 v5, v5, v25 :: v_dual_add_nc_u32 v70, 0xc08, v86
	v_fmamk_f32 v21, v21, 0xbf955555, v28
	v_fmamk_f32 v31, v13, 0x3f4a47b2, v23
	v_dual_mul_f32 v29, 0xbf08b237, v29 :: v_dual_add_f32 v30, v25, v30
	v_mul_f32_e32 v13, 0x3f4a47b2, v13
	v_fma_f32 v23, 0x3f3bfb3b, v18, -v23
	s_delay_alu instid0(VALU_DEP_4)
	v_add_f32_e32 v19, v31, v21
	v_mul_f32_e32 v31, 0x3f5ff5aa, v5
	v_fma_f32 v5, 0x3f5ff5aa, v5, -v29
	v_fma_f32 v13, 0xbf3bfb3b, v18, -v13
	v_add_nc_u32_e32 v121, 0x121c, v86
	v_add_nc_u32_e32 v125, 0x1818, v86
	v_fma_f32 v18, 0xbeae86e6, v22, -v31
	v_sub_f32_e32 v33, v105, v111
	v_add_f32_e32 v13, v13, v21
	v_fmamk_f32 v11, v11, 0x3eae86e6, v12
	s_delay_alu instid0(VALU_DEP_4) | instskip(SKIP_4) | instid1(VALU_DEP_4)
	v_dual_add_f32 v9, v14, v9 :: v_dual_fmac_f32 v18, 0x3ee1c552, v30
	v_dual_fmamk_f32 v25, v22, 0x3eae86e6, v29 :: v_dual_add_f32 v22, v23, v21
	v_add_f32_e32 v29, v68, v62
	v_fmac_f32_e32 v5, 0x3ee1c552, v30
	v_sub_f32_e32 v35, v33, v32
	v_fmac_f32_e32 v25, 0x3ee1c552, v30
	v_add_f32_e32 v30, v13, v18
	v_sub_f32_e32 v13, v13, v18
	v_sub_f32_e32 v21, v22, v5
	v_add_f32_e32 v5, v22, v5
	s_waitcnt vmcnt(1)
	v_dual_add_f32 v23, v19, v25 :: v_dual_add_f32 v22, v80, v60
	v_add_f32_e32 v18, v74, v66
	ds_store_2addr_b32 v116, v16, v20 offset1:1
	ds_store_2addr_b32 v117, v10, v4 offset1:1
	;; [unrolled: 1-line block ×4, first 2 shown]
	v_sub_f32_e32 v4, v63, v69
	v_dual_sub_f32 v10, v67, v75 :: v_dual_sub_f32 v21, v61, v81
	v_dual_sub_f32 v20, v22, v18 :: v_dual_mul_f32 v35, 0xbf08b237, v35
	v_fmac_f32_e32 v11, 0x3ee1c552, v8
	s_delay_alu instid0(VALU_DEP_3)
	v_sub_f32_e32 v30, v10, v4
	v_add_f32_e32 v31, v22, v29
	v_add_f32_e32 v23, v4, v10
	v_sub_f32_e32 v10, v21, v10
	v_sub_f32_e32 v4, v4, v21
	v_sub_f32_e32 v22, v29, v22
	v_add_f32_e32 v16, v31, v18
	v_dual_sub_f32 v18, v18, v29 :: v_dual_add_f32 v23, v21, v23
	s_delay_alu instid0(VALU_DEP_2) | instskip(NEXT) | instid1(VALU_DEP_2)
	v_add_f32_e32 v28, v16, v54
	v_mul_f32_e32 v18, 0x3d64c772, v18
	v_add_nc_u32_e32 v54, 0xc18, v86
	s_delay_alu instid0(VALU_DEP_3) | instskip(NEXT) | instid1(VALU_DEP_3)
	v_fmamk_f32 v16, v16, 0xbf955555, v28
	v_fmamk_f32 v21, v20, 0x3f4a47b2, v18
	v_mul_f32_e32 v30, 0xbf08b237, v30
	v_mul_f32_e32 v20, 0x3f4a47b2, v20
	v_fma_f32 v18, 0x3f3bfb3b, v22, -v18
	s_delay_alu instid0(VALU_DEP_4) | instskip(NEXT) | instid1(VALU_DEP_3)
	v_add_f32_e32 v21, v21, v16
	v_fma_f32 v20, 0xbf3bfb3b, v22, -v20
	v_fmamk_f32 v31, v10, 0x3eae86e6, v30
	s_delay_alu instid0(VALU_DEP_4) | instskip(NEXT) | instid1(VALU_DEP_2)
	v_add_f32_e32 v18, v18, v16
	v_dual_add_f32 v16, v20, v16 :: v_dual_fmac_f32 v31, 0x3ee1c552, v23
	v_mul_f32_e32 v29, 0x3f5ff5aa, v4
	v_fma_f32 v4, 0x3f5ff5aa, v4, -v30
	s_delay_alu instid0(VALU_DEP_3) | instskip(NEXT) | instid1(VALU_DEP_3)
	v_add_f32_e32 v20, v21, v31
	v_fma_f32 v10, 0xbeae86e6, v10, -v29
	s_delay_alu instid0(VALU_DEP_3) | instskip(NEXT) | instid1(VALU_DEP_1)
	v_fmac_f32_e32 v4, 0x3ee1c552, v23
	v_dual_fmac_f32 v10, 0x3ee1c552, v23 :: v_dual_sub_f32 v23, v18, v4
	v_add_f32_e32 v4, v18, v4
	s_delay_alu instid0(VALU_DEP_2)
	v_add_f32_e32 v22, v16, v10
	v_sub_f32_e32 v10, v16, v10
	ds_store_2addr_b32 v54, v5, v13 offset1:1
	ds_store_2addr_b32 v119, v28, v20 offset1:1
	;; [unrolled: 1-line block ×4, first 2 shown]
	v_dual_sub_f32 v13, v7, v59 :: v_dual_sub_f32 v20, v53, v57
	v_add_f32_e32 v18, v58, v6
	s_waitcnt vmcnt(0)
	v_sub_f32_e32 v22, v3, v65
	v_add_f32_e32 v4, v56, v52
	v_sub_f32_e32 v23, v20, v13
	s_delay_alu instid0(VALU_DEP_1) | instskip(NEXT) | instid1(VALU_DEP_1)
	v_dual_add_f32 v16, v64, v2 :: v_dual_mul_f32 v23, 0xbf08b237, v23
	v_dual_add_f32 v5, v16, v18 :: v_dual_sub_f32 v10, v18, v16
	s_delay_alu instid0(VALU_DEP_4) | instskip(SKIP_1) | instid1(VALU_DEP_3)
	v_sub_f32_e32 v16, v16, v4
	v_sub_f32_e32 v18, v4, v18
	v_add_f32_e32 v4, v5, v4
	v_add_f32_e32 v5, v13, v20
	v_dual_sub_f32 v13, v13, v22 :: v_dual_sub_f32 v20, v22, v20
	s_delay_alu instid0(VALU_DEP_2) | instskip(NEXT) | instid1(VALU_DEP_2)
	v_dual_add_f32 v0, v4, v0 :: v_dual_add_f32 v5, v22, v5
	v_mul_f32_e32 v28, 0x3f5ff5aa, v13
	v_fma_f32 v13, 0x3f5ff5aa, v13, -v23
	s_delay_alu instid0(VALU_DEP_4) | instskip(NEXT) | instid1(VALU_DEP_4)
	v_fmamk_f32 v29, v20, 0x3eae86e6, v23
	v_fmamk_f32 v4, v4, 0xbf955555, v0
	s_delay_alu instid0(VALU_DEP_4) | instskip(NEXT) | instid1(VALU_DEP_4)
	v_fma_f32 v20, 0xbeae86e6, v20, -v28
	v_fmac_f32_e32 v13, 0x3ee1c552, v5
	v_mul_f32_e32 v18, 0x3d64c772, v18
	v_fmac_f32_e32 v29, 0x3ee1c552, v5
	v_mul_f32_e32 v22, 0x3f4a47b2, v16
	v_fmac_f32_e32 v20, 0x3ee1c552, v5
	v_add_f32_e32 v28, v110, v104
	v_fmamk_f32 v16, v16, 0x3f4a47b2, v18
	v_fma_f32 v18, 0x3f3bfb3b, v10, -v18
	s_delay_alu instid0(VALU_DEP_2) | instskip(NEXT) | instid1(VALU_DEP_2)
	v_add_f32_e32 v16, v16, v4
	v_add_f32_e32 v18, v18, v4
	s_delay_alu instid0(VALU_DEP_2) | instskip(NEXT) | instid1(VALU_DEP_2)
	v_dual_sub_f32 v5, v16, v29 :: v_dual_add_nc_u32 v122, 0x1810, v86
	v_sub_f32_e32 v23, v18, v13
	v_add_f32_e32 v13, v18, v13
	v_fma_f32 v10, 0xbf3bfb3b, v10, -v22
	v_add_f32_e32 v22, v16, v29
	v_add_f32_e32 v16, v114, v102
                                        ; implicit-def: $vgpr18
	s_delay_alu instid0(VALU_DEP_3) | instskip(NEXT) | instid1(VALU_DEP_1)
	v_add_f32_e32 v10, v10, v4
	v_sub_f32_e32 v4, v10, v20
	v_add_f32_e32 v10, v10, v20
	v_add_f32_e32 v20, v112, v108
	s_delay_alu instid0(VALU_DEP_1) | instskip(SKIP_3) | instid1(VALU_DEP_4)
	v_add_f32_e32 v29, v16, v20
	v_sub_f32_e32 v30, v20, v16
	v_sub_f32_e32 v16, v16, v28
	;; [unrolled: 1-line block ×3, first 2 shown]
	v_dual_add_f32 v28, v29, v28 :: v_dual_add_f32 v29, v32, v33
	v_dual_sub_f32 v32, v32, v34 :: v_dual_sub_f32 v33, v34, v33
	s_delay_alu instid0(VALU_DEP_3) | instskip(NEXT) | instid1(VALU_DEP_3)
	v_mul_f32_e32 v20, 0x3d64c772, v20
	v_dual_add_f32 v36, v28, v100 :: v_dual_add_f32 v29, v34, v29
	v_mul_f32_e32 v34, 0x3f4a47b2, v16
	s_delay_alu instid0(VALU_DEP_4) | instskip(NEXT) | instid1(VALU_DEP_4)
	v_mul_f32_e32 v37, 0x3f5ff5aa, v32
	v_fmamk_f32 v16, v16, 0x3f4a47b2, v20
	v_fma_f32 v20, 0x3f3bfb3b, v30, -v20
	v_fmamk_f32 v28, v28, 0xbf955555, v36
	v_fma_f32 v30, 0xbf3bfb3b, v30, -v34
	v_fma_f32 v32, 0x3f5ff5aa, v32, -v35
	v_fmamk_f32 v34, v33, 0x3eae86e6, v35
	v_fma_f32 v33, 0xbeae86e6, v33, -v37
	v_add_f32_e32 v16, v16, v28
	v_add_f32_e32 v20, v20, v28
	;; [unrolled: 1-line block ×3, first 2 shown]
	v_fmac_f32_e32 v32, 0x3ee1c552, v29
	v_fmac_f32_e32 v33, 0x3ee1c552, v29
	;; [unrolled: 1-line block ×3, first 2 shown]
	v_add_nc_u32_e32 v100, 0x1820, v86
	s_delay_alu instid0(VALU_DEP_4) | instskip(NEXT) | instid1(VALU_DEP_4)
	v_sub_f32_e32 v8, v20, v32
	v_add_f32_e32 v17, v28, v33
	v_add_f32_e32 v14, v20, v32
	v_sub_f32_e32 v20, v28, v33
	v_add_f32_e32 v28, v9, v11
	v_sub_f32_e32 v9, v9, v11
	v_sub_f32_e32 v11, v19, v25
	v_lshl_add_u32 v25, v24, 2, 0
	v_dual_add_f32 v12, v16, v34 :: v_dual_sub_f32 v19, v21, v31
	v_sub_f32_e32 v16, v16, v34
	ds_store_2addr_b32 v86, v36, v12 offset1:1
	ds_store_2addr_b32 v86, v17, v8 offset0:2 offset1:3
	ds_store_2addr_b32 v86, v14, v20 offset0:4 offset1:5
	ds_store_b32 v86, v16 offset:24
	v_add_nc_u32_e32 v133, 0x200, v25
	v_add_nc_u32_e32 v129, 0x400, v25
	;; [unrolled: 1-line block ×3, first 2 shown]
	ds_store_b32 v86, v9 offset:1564
	ds_store_b32 v86, v11 offset:3104
	;; [unrolled: 1-line block ×3, first 2 shown]
	ds_store_2addr_b32 v122, v0, v22 offset1:1
	ds_store_2addr_b32 v125, v10, v23 offset1:1
	;; [unrolled: 1-line block ×4, first 2 shown]
	ds_store_b32 v86, v5 offset:6184
	s_waitcnt lgkmcnt(0)
	s_barrier
	buffer_gl0_inv
	v_add_nc_u32_e32 v127, 0x800, v25
	v_add_nc_u32_e32 v128, 0xc00, v25
	;; [unrolled: 1-line block ×7, first 2 shown]
	ds_load_b32 v123, v25 offset:7440
	ds_load_2addr_b32 v[10:11], v25 offset1:55
	ds_load_2addr_b32 v[8:9], v25 offset0:110 offset1:175
	ds_load_2addr_b32 v[50:51], v129 offset0:94 offset1:149
	;; [unrolled: 1-line block ×13, first 2 shown]
	ds_load_2addr_b32 v[32:33], v131 offset1:55
	ds_load_2addr_b32 v[28:29], v132 offset0:94 offset1:149
                                        ; implicit-def: $vgpr14
                                        ; implicit-def: $vgpr13
                                        ; implicit-def: $vgpr17
	s_and_saveexec_b32 s1, s0
	s_cbranch_execz .LBB0_13
; %bb.12:
	v_add_nc_u32_e32 v0, 0xd00, v25
	v_add_nc_u32_e32 v12, 0x1200, v25
	ds_load_2addr_b32 v[4:5], v133 offset0:37 offset1:212
	ds_load_2addr_b32 v[18:19], v127 offset0:3 offset1:178
	;; [unrolled: 1-line block ×5, first 2 shown]
	ds_load_b32 v124, v25 offset:7660
.LBB0_13:
	s_or_b32 exec_lo, exec_lo, s1
	v_dual_add_f32 v0, v115, v103 :: v_dual_add_f32 v103, v113, v109
	v_dual_sub_f32 v102, v102, v114 :: v_dual_add_f32 v105, v111, v105
	v_dual_sub_f32 v108, v108, v112 :: v_dual_add_f32 v89, v95, v89
	s_delay_alu instid0(VALU_DEP_3) | instskip(SKIP_1) | instid1(VALU_DEP_4)
	v_dual_sub_f32 v90, v90, v106 :: v_dual_add_f32 v109, v0, v103
	v_sub_f32_e32 v104, v104, v110
	v_dual_sub_f32 v110, v103, v0 :: v_dual_sub_f32 v103, v105, v103
	v_sub_f32_e32 v0, v0, v105
	s_delay_alu instid0(VALU_DEP_4) | instskip(NEXT) | instid1(VALU_DEP_4)
	v_add_f32_e32 v105, v109, v105
	v_add_f32_e32 v111, v108, v104
	v_sub_f32_e32 v109, v104, v108
	v_dual_sub_f32 v104, v102, v104 :: v_dual_mul_f32 v103, 0x3d64c772, v103
	s_delay_alu instid0(VALU_DEP_4) | instskip(NEXT) | instid1(VALU_DEP_4)
	v_dual_add_f32 v101, v105, v101 :: v_dual_sub_f32 v108, v108, v102
	v_dual_add_f32 v102, v102, v111 :: v_dual_mul_f32 v111, 0x3f4a47b2, v0
	s_delay_alu instid0(VALU_DEP_2) | instskip(NEXT) | instid1(VALU_DEP_4)
	v_dual_sub_f32 v76, v76, v84 :: v_dual_fmamk_f32 v105, v105, 0xbf955555, v101
	v_fmamk_f32 v0, v0, 0x3f4a47b2, v103
	v_fma_f32 v103, 0x3f3bfb3b, v110, -v103
	v_mul_f32_e32 v112, 0x3f5ff5aa, v108
	v_fma_f32 v110, 0xbf3bfb3b, v110, -v111
	v_sub_f32_e32 v78, v78, v92
	v_add_f32_e32 v0, v0, v105
	v_mul_f32_e32 v109, 0xbf08b237, v109
	v_add_f32_e32 v103, v103, v105
	v_add_f32_e32 v105, v110, v105
	v_dual_sub_f32 v82, v82, v96 :: v_dual_add_f32 v83, v97, v83
	s_delay_alu instid0(VALU_DEP_4) | instskip(SKIP_2) | instid1(VALU_DEP_4)
	v_fmamk_f32 v111, v104, 0x3eae86e6, v109
	v_fma_f32 v108, 0x3f5ff5aa, v108, -v109
	v_fma_f32 v104, 0xbeae86e6, v104, -v112
	v_dual_add_f32 v91, v107, v91 :: v_dual_add_f32 v96, v82, v90
	s_delay_alu instid0(VALU_DEP_4) | instskip(SKIP_1) | instid1(VALU_DEP_4)
	v_fmac_f32_e32 v111, 0x3ee1c552, v102
	v_sub_f32_e32 v88, v88, v94
	v_fmac_f32_e32 v104, 0x3ee1c552, v102
	v_fmac_f32_e32 v108, 0x3ee1c552, v102
	v_dual_add_f32 v94, v89, v83 :: v_dual_sub_f32 v95, v83, v89
	v_sub_f32_e32 v89, v89, v91
	s_delay_alu instid0(VALU_DEP_3)
	v_dual_sub_f32 v109, v105, v104 :: v_dual_add_f32 v110, v108, v103
	v_sub_f32_e32 v103, v103, v108
	v_sub_f32_e32 v83, v91, v83
	v_add_f32_e32 v91, v94, v91
	v_sub_f32_e32 v94, v90, v82
	v_sub_f32_e32 v90, v88, v90
	;; [unrolled: 1-line block ×3, first 2 shown]
	s_delay_alu instid0(VALU_DEP_4) | instskip(SKIP_2) | instid1(VALU_DEP_4)
	v_dual_add_f32 v88, v88, v96 :: v_dual_add_f32 v87, v91, v87
	v_mul_f32_e32 v96, 0x3f4a47b2, v89
	v_mul_f32_e32 v83, 0x3d64c772, v83
	v_dual_mul_f32 v97, 0x3f5ff5aa, v82 :: v_dual_sub_f32 v102, v0, v111
	s_delay_alu instid0(VALU_DEP_4) | instskip(SKIP_1) | instid1(VALU_DEP_4)
	v_fmamk_f32 v91, v91, 0xbf955555, v87
	v_dual_add_f32 v63, v69, v63 :: v_dual_sub_f32 v62, v62, v68
	v_fmamk_f32 v89, v89, 0x3f4a47b2, v83
	v_mul_f32_e32 v94, 0xbf08b237, v94
	v_fma_f32 v83, 0x3f3bfb3b, v95, -v83
	v_fma_f32 v95, 0xbf3bfb3b, v95, -v96
	s_delay_alu instid0(VALU_DEP_4) | instskip(NEXT) | instid1(VALU_DEP_3)
	v_dual_sub_f32 v6, v6, v58 :: v_dual_add_f32 v89, v89, v91
	v_dual_fmamk_f32 v96, v90, 0x3eae86e6, v94 :: v_dual_add_f32 v83, v83, v91
	v_fma_f32 v82, 0x3f5ff5aa, v82, -v94
	v_add_f32_e32 v94, v111, v0
	v_fma_f32 v90, 0xbeae86e6, v90, -v97
	v_add_f32_e32 v0, v99, v73
	s_delay_alu instid0(VALU_DEP_4) | instskip(NEXT) | instid1(VALU_DEP_3)
	v_dual_add_f32 v73, v85, v77 :: v_dual_fmac_f32 v82, 0x3ee1c552, v88
	v_dual_add_f32 v77, v93, v79 :: v_dual_fmac_f32 v90, 0x3ee1c552, v88
	v_fmac_f32_e32 v96, 0x3ee1c552, v88
	v_add_f32_e32 v88, v104, v105
	s_delay_alu instid0(VALU_DEP_4) | instskip(SKIP_3) | instid1(VALU_DEP_3)
	v_add_f32_e32 v104, v82, v83
	v_dual_add_f32 v91, v95, v91 :: v_dual_sub_f32 v72, v72, v98
	v_dual_add_f32 v79, v0, v73 :: v_dual_sub_f32 v82, v83, v82
	v_sub_f32_e32 v83, v73, v0
	v_sub_f32_e32 v97, v91, v90
	v_dual_sub_f32 v95, v89, v96 :: v_dual_sub_f32 v0, v0, v77
	v_dual_sub_f32 v73, v77, v73 :: v_dual_add_f32 v84, v76, v78
	v_add_f32_e32 v77, v79, v77
	v_dual_sub_f32 v79, v78, v76 :: v_dual_sub_f32 v78, v72, v78
	v_sub_f32_e32 v76, v76, v72
	s_delay_alu instid0(VALU_DEP_4) | instskip(NEXT) | instid1(VALU_DEP_4)
	v_dual_add_f32 v72, v72, v84 :: v_dual_mul_f32 v73, 0x3d64c772, v73
	v_dual_add_f32 v71, v77, v71 :: v_dual_sub_f32 v60, v60, v80
	s_delay_alu instid0(VALU_DEP_3) | instskip(SKIP_1) | instid1(VALU_DEP_3)
	v_mul_f32_e32 v85, 0x3f5ff5aa, v76
	v_dual_add_f32 v61, v81, v61 :: v_dual_sub_f32 v52, v52, v56
	v_fmamk_f32 v77, v77, 0xbf955555, v71
	v_mul_f32_e32 v84, 0x3f4a47b2, v0
	v_fmamk_f32 v0, v0, 0x3f4a47b2, v73
	v_mul_f32_e32 v79, 0xbf08b237, v79
	v_fma_f32 v73, 0x3f3bfb3b, v83, -v73
	v_dual_sub_f32 v66, v66, v74 :: v_dual_add_f32 v67, v75, v67
	s_delay_alu instid0(VALU_DEP_4) | instskip(NEXT) | instid1(VALU_DEP_4)
	v_add_f32_e32 v0, v0, v77
	v_fma_f32 v76, 0x3f5ff5aa, v76, -v79
	s_delay_alu instid0(VALU_DEP_4) | instskip(SKIP_3) | instid1(VALU_DEP_3)
	v_add_f32_e32 v73, v73, v77
	v_fma_f32 v83, 0xbf3bfb3b, v83, -v84
	v_dual_fmamk_f32 v84, v78, 0x3eae86e6, v79 :: v_dual_add_f32 v79, v96, v89
	v_fma_f32 v78, 0xbeae86e6, v78, -v85
	v_dual_fmac_f32 v76, 0x3ee1c552, v72 :: v_dual_add_f32 v77, v83, v77
	v_dual_add_f32 v68, v61, v63 :: v_dual_sub_f32 v69, v63, v61
	s_delay_alu instid0(VALU_DEP_2) | instskip(SKIP_2) | instid1(VALU_DEP_3)
	v_dual_fmac_f32 v78, 0x3ee1c552, v72 :: v_dual_add_f32 v89, v76, v73
	v_fmac_f32_e32 v84, 0x3ee1c552, v72
	v_dual_sub_f32 v73, v73, v76 :: v_dual_add_f32 v74, v62, v66
	v_sub_f32_e32 v85, v77, v78
	v_sub_f32_e32 v61, v61, v67
	s_delay_alu instid0(VALU_DEP_4) | instskip(SKIP_4) | instid1(VALU_DEP_4)
	v_sub_f32_e32 v83, v0, v84
	v_sub_f32_e32 v63, v67, v63
	v_dual_add_f32 v67, v68, v67 :: v_dual_sub_f32 v68, v66, v62
	v_sub_f32_e32 v66, v60, v66
	v_sub_f32_e32 v62, v62, v60
	v_dual_add_f32 v60, v60, v74 :: v_dual_mul_f32 v63, 0x3d64c772, v63
	s_delay_alu instid0(VALU_DEP_4) | instskip(NEXT) | instid1(VALU_DEP_3)
	v_dual_mul_f32 v74, 0x3f4a47b2, v61 :: v_dual_add_f32 v55, v67, v55
	v_dual_mul_f32 v75, 0x3f5ff5aa, v62 :: v_dual_sub_f32 v2, v2, v64
	s_delay_alu instid0(VALU_DEP_3) | instskip(SKIP_1) | instid1(VALU_DEP_4)
	v_fmamk_f32 v61, v61, 0x3f4a47b2, v63
	v_fma_f32 v63, 0x3f3bfb3b, v69, -v63
	v_fmamk_f32 v67, v67, 0xbf955555, v55
	v_mul_f32_e32 v68, 0xbf08b237, v68
	v_fma_f32 v69, 0xbf3bfb3b, v69, -v74
	v_add_f32_e32 v72, v90, v91
	s_waitcnt lgkmcnt(0)
	s_delay_alu instid0(VALU_DEP_3)
	v_dual_add_f32 v61, v61, v67 :: v_dual_fmamk_f32 v74, v66, 0x3eae86e6, v68
	v_add_f32_e32 v63, v63, v67
	v_fma_f32 v62, 0x3f5ff5aa, v62, -v68
	v_add_f32_e32 v68, v84, v0
	v_add_f32_e32 v0, v65, v3
	;; [unrolled: 1-line block ×5, first 2 shown]
	v_fmac_f32_e32 v62, 0x3ee1c552, v60
	v_fma_f32 v66, 0xbeae86e6, v66, -v75
	v_dual_add_f32 v53, v0, v3 :: v_dual_sub_f32 v56, v3, v0
	v_sub_f32_e32 v0, v0, v7
	v_dual_sub_f32 v3, v7, v3 :: v_dual_fmac_f32 v74, 0x3ee1c552, v60
	s_delay_alu instid0(VALU_DEP_3)
	v_add_f32_e32 v7, v53, v7
	v_add_f32_e32 v76, v62, v63
	;; [unrolled: 1-line block ×3, first 2 shown]
	v_dual_sub_f32 v53, v52, v6 :: v_dual_sub_f32 v52, v2, v52
	v_sub_f32_e32 v6, v6, v2
	v_add_f32_e32 v2, v2, v57
	v_add_f32_e32 v57, v7, v1
	v_mul_f32_e32 v1, 0x3d64c772, v3
	v_dual_fmac_f32 v66, 0x3ee1c552, v60 :: v_dual_sub_f32 v69, v61, v74
	v_mul_f32_e32 v3, 0x3f4a47b2, v0
	s_delay_alu instid0(VALU_DEP_4) | instskip(NEXT) | instid1(VALU_DEP_4)
	v_fmamk_f32 v7, v7, 0xbf955555, v57
	v_fmamk_f32 v0, v0, 0x3f4a47b2, v1
	v_mul_f32_e32 v58, 0x3f5ff5aa, v6
	v_fma_f32 v1, 0x3f3bfb3b, v56, -v1
	v_mul_f32_e32 v53, 0xbf08b237, v53
	v_fma_f32 v3, 0xbf3bfb3b, v56, -v3
	v_dual_add_f32 v60, v78, v77 :: v_dual_sub_f32 v75, v67, v66
	v_sub_f32_e32 v62, v63, v62
	s_delay_alu instid0(VALU_DEP_4)
	v_fmamk_f32 v56, v52, 0x3eae86e6, v53
	v_fma_f32 v6, 0x3f5ff5aa, v6, -v53
	v_add_f32_e32 v53, v0, v7
	v_fma_f32 v52, 0xbeae86e6, v52, -v58
	s_barrier
	v_fmac_f32_e32 v56, 0x3ee1c552, v2
	v_fmac_f32_e32 v6, 0x3ee1c552, v2
	buffer_gl0_inv
	v_fmac_f32_e32 v52, 0x3ee1c552, v2
	v_add_f32_e32 v2, v66, v67
	v_add_f32_e32 v0, v1, v7
	;; [unrolled: 1-line block ×4, first 2 shown]
	v_sub_f32_e32 v7, v53, v56
                                        ; implicit-def: $vgpr64
	s_delay_alu instid0(VALU_DEP_4) | instskip(NEXT) | instid1(VALU_DEP_4)
	v_dual_add_f32 v59, v6, v0 :: v_dual_sub_f32 v6, v0, v6
	v_sub_f32_e32 v58, v1, v52
	v_add_f32_e32 v0, v52, v1
	v_add_f32_e32 v1, v56, v53
	ds_store_2addr_b32 v86, v101, v102 offset1:1
	ds_store_2addr_b32 v86, v109, v110 offset0:2 offset1:3
	ds_store_2addr_b32 v86, v103, v88 offset0:4 offset1:5
	ds_store_b32 v86, v94 offset:24
	ds_store_2addr_b32 v116, v97, v104 offset1:1
	ds_store_2addr_b32 v117, v82, v72 offset1:1
	;; [unrolled: 1-line block ×8, first 2 shown]
	ds_store_b32 v86, v79 offset:1564
	ds_store_b32 v86, v68 offset:3104
	ds_store_b32 v86, v3 offset:4644
	ds_store_2addr_b32 v122, v57, v7 offset1:1
	ds_store_2addr_b32 v125, v58, v59 offset1:1
	;; [unrolled: 1-line block ×4, first 2 shown]
	ds_store_b32 v86, v1 offset:6184
	s_waitcnt lgkmcnt(0)
	s_barrier
	buffer_gl0_inv
	ds_load_2addr_b32 v[6:7], v25 offset1:55
	ds_load_2addr_b32 v[2:3], v25 offset0:110 offset1:175
	ds_load_2addr_b32 v[86:87], v129 offset0:94 offset1:149
	;; [unrolled: 1-line block ×13, first 2 shown]
	ds_load_2addr_b32 v[68:69], v131 offset1:55
	ds_load_2addr_b32 v[62:63], v132 offset0:94 offset1:149
	ds_load_b32 v126, v25 offset:7440
                                        ; implicit-def: $vgpr54
                                        ; implicit-def: $vgpr125
                                        ; implicit-def: $vgpr53
                                        ; implicit-def: $vgpr59
	s_and_saveexec_b32 s1, s0
	s_cbranch_execz .LBB0_15
; %bb.14:
	v_add_nc_u32_e32 v0, 0x200, v25
	v_add_nc_u32_e32 v52, 0x800, v25
	;; [unrolled: 1-line block ×5, first 2 shown]
	ds_load_2addr_b32 v[0:1], v0 offset0:37 offset1:212
	ds_load_2addr_b32 v[64:65], v52 offset0:3 offset1:178
	;; [unrolled: 1-line block ×5, first 2 shown]
	ds_load_b32 v125, v25 offset:7660
.LBB0_15:
	s_or_b32 exec_lo, exec_lo, s1
	v_and_b32_e32 v88, 0xff, v24
	s_delay_alu instid0(VALU_DEP_1) | instskip(NEXT) | instid1(VALU_DEP_1)
	v_mul_lo_u16 v88, v88, 37
	v_lshrrev_b16 v90, 8, v88
	v_add_nc_u32_e32 v88, 55, v24
	s_delay_alu instid0(VALU_DEP_2) | instskip(NEXT) | instid1(VALU_DEP_2)
	v_sub_nc_u16 v89, v24, v90
	v_and_b32_e32 v91, 0xff, v88
	s_delay_alu instid0(VALU_DEP_2) | instskip(NEXT) | instid1(VALU_DEP_2)
	v_lshrrev_b16 v89, 1, v89
	v_mul_lo_u16 v91, v91, 37
	s_delay_alu instid0(VALU_DEP_2) | instskip(SKIP_1) | instid1(VALU_DEP_2)
	v_and_b32_e32 v92, 0x7f, v89
	v_add_nc_u32_e32 v89, 0x6e, v24
	v_add_nc_u16 v90, v92, v90
	s_delay_alu instid0(VALU_DEP_4) | instskip(NEXT) | instid1(VALU_DEP_3)
	v_lshrrev_b16 v92, 8, v91
	v_and_b32_e32 v91, 0xff, v89
	s_delay_alu instid0(VALU_DEP_3) | instskip(NEXT) | instid1(VALU_DEP_3)
	v_lshrrev_b16 v111, 2, v90
	v_sub_nc_u16 v90, v88, v92
	s_delay_alu instid0(VALU_DEP_3) | instskip(NEXT) | instid1(VALU_DEP_3)
	v_mul_lo_u16 v93, v91, 37
	v_mul_lo_u16 v94, v111, 7
	s_delay_alu instid0(VALU_DEP_3) | instskip(NEXT) | instid1(VALU_DEP_3)
	v_lshrrev_b16 v90, 1, v90
	v_lshrrev_b16 v93, 8, v93
	s_delay_alu instid0(VALU_DEP_3) | instskip(NEXT) | instid1(VALU_DEP_3)
	v_sub_nc_u16 v94, v24, v94
	v_and_b32_e32 v90, 0x7f, v90
	s_delay_alu instid0(VALU_DEP_3) | instskip(NEXT) | instid1(VALU_DEP_3)
	v_sub_nc_u16 v95, v89, v93
	v_and_b32_e32 v112, 0xff, v94
	s_delay_alu instid0(VALU_DEP_3) | instskip(NEXT) | instid1(VALU_DEP_3)
	v_add_nc_u16 v90, v90, v92
	v_lshrrev_b16 v92, 1, v95
	s_delay_alu instid0(VALU_DEP_3) | instskip(NEXT) | instid1(VALU_DEP_3)
	v_mul_u32_u24_e32 v94, 10, v112
	v_lshrrev_b16 v103, 2, v90
	s_delay_alu instid0(VALU_DEP_2)
	v_lshlrev_b32_e32 v97, 3, v94
	global_load_b128 v[127:130], v97, s[4:5] offset:32
	v_and_b32_e32 v90, 0x7f, v92
	v_mul_lo_u16 v92, v103, 7
	global_load_b128 v[98:101], v97, s[4:5] offset:16
	v_add_nc_u16 v90, v90, v93
	global_load_b128 v[93:96], v97, s[4:5]
	v_sub_nc_u16 v92, v88, v92
	v_lshrrev_b16 v104, 2, v90
	s_delay_alu instid0(VALU_DEP_2) | instskip(NEXT) | instid1(VALU_DEP_2)
	v_and_b32_e32 v106, 0xff, v92
	v_mul_lo_u16 v90, v104, 7
	s_delay_alu instid0(VALU_DEP_2) | instskip(NEXT) | instid1(VALU_DEP_2)
	v_mul_u32_u24_e32 v92, 10, v106
	v_sub_nc_u16 v90, v89, v90
	s_delay_alu instid0(VALU_DEP_2)
	v_lshlrev_b32_e32 v102, 3, v92
	s_waitcnt vmcnt(0)
	v_mul_f32_e32 v114, v50, v96
	s_clause 0x3
	global_load_b128 v[131:134], v97, s[4:5] offset:48
	global_load_b128 v[135:138], v102, s[4:5]
	global_load_b128 v[143:146], v102, s[4:5] offset:16
	global_load_b128 v[159:162], v97, s[4:5] offset:64
	v_and_b32_e32 v109, 0xff, v90
	v_add_nc_u32_e32 v90, 0xa5, v24
	s_clause 0x1
	global_load_b128 v[151:154], v102, s[4:5] offset:32
	global_load_b128 v[163:166], v102, s[4:5] offset:48
	s_waitcnt lgkmcnt(14)
	v_fmac_f32_e32 v114, v86, v95
	v_mul_u32_u24_e32 v105, 10, v109
	v_and_b32_e32 v92, 0xff, v90
	v_mul_f32_e32 v118, v9, v94
	global_load_b128 v[171:174], v102, s[4:5] offset:64
	s_waitcnt lgkmcnt(12)
	v_mul_f32_e32 v102, v80, v101
	v_lshlrev_b32_e32 v105, 3, v105
	v_mul_lo_u16 v107, v92, 37
	v_fmac_f32_e32 v118, v3, v93
	global_load_b128 v[139:142], v105, s[4:5]
	v_lshrrev_b16 v107, 8, v107
	s_clause 0x2
	global_load_b128 v[147:150], v105, s[4:5] offset:16
	global_load_b128 v[155:158], v105, s[4:5] offset:32
	;; [unrolled: 1-line block ×3, first 2 shown]
	v_sub_nc_u16 v108, v90, v107
	s_delay_alu instid0(VALU_DEP_1) | instskip(NEXT) | instid1(VALU_DEP_1)
	v_lshrrev_b16 v108, 1, v108
	v_and_b32_e32 v108, 0x7f, v108
	s_delay_alu instid0(VALU_DEP_1) | instskip(NEXT) | instid1(VALU_DEP_1)
	v_add_nc_u16 v107, v108, v107
	v_lshrrev_b16 v120, 2, v107
	s_delay_alu instid0(VALU_DEP_1) | instskip(NEXT) | instid1(VALU_DEP_1)
	v_mul_lo_u16 v97, v120, 7
	v_sub_nc_u16 v97, v90, v97
	s_delay_alu instid0(VALU_DEP_1) | instskip(NEXT) | instid1(VALU_DEP_1)
	v_and_b32_e32 v121, 0xff, v97
	v_mul_u32_u24_e32 v97, 10, v121
	s_delay_alu instid0(VALU_DEP_1)
	v_lshlrev_b32_e32 v97, 3, v97
	s_clause 0x5
	global_load_b128 v[175:178], v105, s[4:5] offset:64
	global_load_b128 v[179:182], v97, s[4:5]
	global_load_b128 v[183:186], v97, s[4:5] offset:16
	global_load_b128 v[187:190], v97, s[4:5] offset:32
	;; [unrolled: 1-line block ×4, first 2 shown]
	v_dual_mul_f32 v97, v3, v94 :: v_dual_mul_f32 v94, v86, v96
	v_mul_f32_e32 v96, v83, v99
	v_mul_f32_e32 v105, v47, v99
	s_waitcnt lgkmcnt(11)
	v_mul_f32_e32 v3, v77, v128
	v_fma_f32 v119, v9, v93, -v97
	s_waitcnt lgkmcnt(10)
	v_mul_f32_e32 v9, v74, v130
	v_fma_f32 v115, v50, v95, -v94
	v_mul_f32_e32 v99, v44, v101
	v_mul_f32_e32 v95, v41, v128
	v_fma_f32 v108, v47, v98, -v96
	v_fmac_f32_e32 v105, v83, v98
	v_fma_f32 v101, v44, v100, -v102
	v_mul_f32_e32 v96, v38, v130
	v_fma_f32 v97, v41, v127, -v3
	v_fma_f32 v98, v38, v129, -v9
	v_fmac_f32_e32 v99, v80, v100
	s_delay_alu instid0(VALU_DEP_4)
	v_dual_fmac_f32 v95, v77, v127 :: v_dual_fmac_f32 v96, v74, v129
	s_waitcnt vmcnt(0) lgkmcnt(0)
	s_barrier
	buffer_gl0_inv
	v_lshlrev_b32_e32 v112, 2, v112
	v_mul_f32_e32 v102, v35, v132
	v_dual_mul_f32 v44, v87, v138 :: v_dual_mul_f32 v77, v78, v144
	v_dual_mul_f32 v86, v51, v138 :: v_dual_mul_f32 v83, v42, v144
	v_mul_f32_e32 v3, v84, v136
	v_dual_mul_f32 v100, v71, v132 :: v_dual_mul_f32 v9, v66, v134
	v_dual_mul_f32 v110, v30, v134 :: v_dual_mul_f32 v129, v72, v152
	v_fma_f32 v93, v51, v137, -v44
	v_dual_fmac_f32 v86, v87, v137 :: v_dual_mul_f32 v51, v36, v152
	v_fma_f32 v87, v48, v135, -v3
	v_dual_mul_f32 v74, v81, v146 :: v_dual_mul_f32 v117, v23, v160
	v_mul_f32_e32 v116, v20, v162
	v_mul_f32_e32 v80, v45, v146
	v_fma_f32 v107, v35, v131, -v100
	v_dual_mul_f32 v38, v85, v140 :: v_dual_mul_f32 v47, v46, v142
	v_mul_f32_e32 v94, v48, v136
	v_mul_f32_e32 v127, v76, v150
	;; [unrolled: 1-line block ×3, first 2 shown]
	s_delay_alu instid0(VALU_DEP_4) | instskip(NEXT) | instid1(VALU_DEP_4)
	v_fma_f32 v48, v49, v139, -v38
	v_dual_fmac_f32 v47, v82, v141 :: v_dual_fmac_f32 v94, v84, v135
	v_mul_f32_e32 v38, v40, v150
	v_dual_mul_f32 v50, v49, v140 :: v_dual_mul_f32 v35, v34, v158
	v_dual_mul_f32 v41, v82, v142 :: v_dual_mul_f32 v122, v79, v148
	v_dual_mul_f32 v44, v43, v148 :: v_dual_fmac_f32 v83, v78, v143
	v_dual_mul_f32 v49, v39, v154 :: v_dual_mul_f32 v130, v73, v156
	v_mul_f32_e32 v137, v60, v170
	v_mul_f32_e32 v132, v70, v158
	v_fmac_f32_e32 v102, v71, v131
	v_fma_f32 v113, v30, v133, -v9
	v_dual_fmac_f32 v110, v66, v133 :: v_dual_mul_f32 v131, v61, v160
	v_mul_f32_e32 v133, v56, v162
	v_fma_f32 v82, v45, v145, -v74
	v_mul_f32_e32 v134, v67, v166
	v_dual_mul_f32 v138, v62, v172 :: v_dual_fmac_f32 v51, v72, v151
	v_fma_f32 v40, v40, v149, -v127
	v_mul_f32_e32 v100, v21, v174
	v_dual_fmac_f32 v38, v76, v149 :: v_dual_fmac_f32 v3, v73, v155
	v_fmac_f32_e32 v50, v85, v139
	v_fma_f32 v46, v46, v141, -v41
	v_dual_mul_f32 v128, v75, v154 :: v_dual_mul_f32 v41, v33, v168
	v_dual_mul_f32 v84, v31, v166 :: v_dual_mul_f32 v135, v68, v164
	v_fmac_f32_e32 v80, v81, v145
	v_fma_f32 v85, v42, v143, -v77
	v_mul_f32_e32 v81, v32, v164
	v_dual_mul_f32 v136, v69, v168 :: v_dual_fmac_f32 v49, v75, v153
	v_fma_f32 v42, v43, v147, -v122
	v_dual_mul_f32 v43, v22, v170 :: v_dual_fmac_f32 v44, v79, v147
	v_mul_f32_e32 v79, v28, v172
	v_mul_f32_e32 v139, v57, v174
	v_fma_f32 v75, v36, v151, -v129
	v_fma_f32 v34, v34, v157, -v132
	v_mul_f32_e32 v127, v63, v176
	v_mul_f32_e32 v77, v5, v180
	v_dual_mul_f32 v45, v29, v176 :: v_dual_mul_f32 v140, v126, v178
	v_dual_mul_f32 v76, v18, v182 :: v_dual_mul_f32 v73, v13, v196
	;; [unrolled: 1-line block ×3, first 2 shown]
	s_delay_alu instid0(VALU_DEP_3) | instskip(NEXT) | instid1(VALU_DEP_3)
	v_dual_fmac_f32 v45, v63, v175 :: v_dual_fmac_f32 v116, v56, v161
	v_dual_fmac_f32 v73, v53, v195 :: v_dual_mul_f32 v78, v123, v178
	v_mul_f32_e32 v71, v17, v192
	v_dual_mul_f32 v141, v1, v180 :: v_dual_mul_f32 v142, v64, v182
	v_dual_fmac_f32 v35, v70, v157 :: v_dual_mul_f32 v74, v19, v184
	v_dual_fmac_f32 v117, v61, v159 :: v_dual_mul_f32 v66, v14, v186
	v_fmac_f32_e32 v81, v68, v163
	v_mul_f32_e32 v129, v55, v188
	v_dual_mul_f32 v132, v53, v196 :: v_dual_fmac_f32 v9, v55, v187
	v_fma_f32 v61, v20, v161, -v133
	v_dual_fmac_f32 v100, v57, v173 :: v_dual_sub_f32 v53, v95, v96
	v_dual_fmac_f32 v72, v52, v193 :: v_dual_sub_f32 v55, v118, v116
	v_fma_f32 v39, v39, v153, -v128
	v_dual_mul_f32 v128, v65, v184 :: v_dual_mul_f32 v145, v52, v194
	v_mul_f32_e32 v143, v54, v186
	v_fma_f32 v36, v37, v155, -v130
	v_dual_mul_f32 v30, v16, v190 :: v_dual_fmac_f32 v79, v62, v171
	v_dual_mul_f32 v130, v59, v192 :: v_dual_fmac_f32 v43, v60, v169
	v_dual_mul_f32 v70, v124, v198 :: v_dual_fmac_f32 v77, v1, v179
	v_fma_f32 v122, v23, v159, -v131
	v_fma_f32 v56, v31, v165, -v134
	v_dual_fmac_f32 v84, v67, v165 :: v_dual_add_f32 v1, v10, v119
	v_fma_f32 v20, v33, v167, -v136
	v_fma_f32 v60, v21, v173, -v139
	;; [unrolled: 1-line block ×4, first 2 shown]
	v_fmac_f32_e32 v78, v126, v177
	v_fma_f32 v31, v5, v179, -v141
	v_sub_f32_e32 v5, v105, v110
	v_fma_f32 v29, v18, v181, -v142
	v_fmac_f32_e32 v74, v65, v183
	v_dual_fmac_f32 v66, v54, v185 :: v_dual_add_f32 v65, v11, v87
	v_sub_f32_e32 v18, v99, v102
	v_dual_add_f32 v54, v97, v98 :: v_dual_add_f32 v57, v119, v61
	v_dual_sub_f32 v68, v94, v100 :: v_dual_mul_f32 v131, 0xbf7d64f0, v53
	v_mul_f32_e32 v136, 0xbf7d64f0, v55
	v_dual_mul_f32 v144, v58, v190 :: v_dual_fmac_f32 v41, v69, v167
	v_dual_mul_f32 v146, v125, v198 :: v_dual_fmac_f32 v71, v59, v191
	v_fma_f32 v37, v32, v163, -v135
	v_fma_f32 v22, v22, v169, -v137
	v_fmac_f32_e32 v76, v64, v181
	v_dual_fmac_f32 v30, v58, v189 :: v_dual_add_f32 v67, v87, v60
	v_fma_f32 v13, v13, v195, -v132
	v_sub_f32_e32 v59, v114, v117
	v_fmac_f32_e32 v70, v125, v197
	v_dual_mul_f32 v64, 0x3f68dda4, v5 :: v_dual_add_f32 v1, v1, v115
	v_mul_f32_e32 v69, 0xbf0a6770, v5
	v_dual_mul_f32 v125, 0xbf0a6770, v18 :: v_dual_add_f32 v132, v93, v33
	v_dual_mul_f32 v134, 0xbf0a6770, v55 :: v_dual_add_f32 v65, v65, v93
	v_mul_f32_e32 v135, 0xbf68dda4, v55
	v_mul_f32_e32 v142, 0xbf0a6770, v68
	v_fma_f32 v164, 0xbe11bafb, v57, -v136
	v_fmac_f32_e32 v136, 0xbe11bafb, v57
	v_mul_f32_e32 v137, 0xbf4178ce, v55
	v_mul_f32_e32 v55, 0xbe903f40, v55
	v_fma_f32 v32, v123, v177, -v140
	v_fma_f32 v28, v19, v183, -v128
	;; [unrolled: 1-line block ×8, first 2 shown]
	v_add_f32_e32 v17, v108, v113
	v_dual_add_f32 v19, v101, v107 :: v_dual_add_f32 v58, v115, v122
	v_mul_f32_e32 v63, 0x3e903f40, v5
	v_mul_f32_e32 v62, 0xbf7d64f0, v5
	;; [unrolled: 1-line block ×4, first 2 shown]
	v_dual_mul_f32 v124, 0x3f7d64f0, v18 :: v_dual_sub_f32 v133, v83, v84
	v_dual_mul_f32 v126, 0xbe903f40, v18 :: v_dual_mul_f32 v127, 0xbe903f40, v53
	v_dual_mul_f32 v18, 0x3f68dda4, v18 :: v_dual_add_f32 v1, v1, v108
	v_mul_f32_e32 v128, 0x3f0a6770, v53
	v_dual_mul_f32 v129, 0xbf4178ce, v53 :: v_dual_add_f32 v164, v10, v164
	v_dual_mul_f32 v138, 0xbf68dda4, v59 :: v_dual_mul_f32 v143, 0xbf68dda4, v68
	s_delay_alu instid0(VALU_DEP_4)
	v_dual_mul_f32 v140, 0x3e903f40, v59 :: v_dual_add_f32 v1, v1, v101
	v_mul_f32_e32 v144, 0xbf7d64f0, v68
	v_mul_f32_e32 v145, 0xbf4178ce, v68
	v_mul_f32_e32 v68, 0xbe903f40, v68
	v_fma_f32 v163, 0x3ed4b147, v57, -v135
	v_dual_mul_f32 v130, 0x3f68dda4, v53 :: v_dual_sub_f32 v53, v86, v79
	v_fma_f32 v166, 0xbf75a155, v57, -v55
	v_mul_f32_e32 v139, 0xbf4178ce, v59
	v_add_f32_e32 v65, v65, v85
	v_fma_f32 v168, 0x3f575c64, v67, -v142
	v_fmac_f32_e32 v142, 0x3f575c64, v67
	v_mul_f32_e32 v141, 0x3f7d64f0, v59
	v_mul_f32_e32 v59, 0x3f0a6770, v59
	v_fma_f32 v146, 0xbe11bafb, v17, -v62
	v_fmac_f32_e32 v62, 0xbe11bafb, v17
	v_fma_f32 v147, 0xbf75a155, v17, -v63
	v_fmac_f32_e32 v63, 0xbf75a155, v17
	;; [unrolled: 2-line block ×5, first 2 shown]
	v_fma_f32 v17, 0xbf27a4f4, v19, -v123
	v_fma_f32 v151, 0xbe11bafb, v19, -v124
	;; [unrolled: 1-line block ×3, first 2 shown]
	v_fmac_f32_e32 v125, 0x3f575c64, v19
	v_fma_f32 v153, 0xbf75a155, v19, -v126
	v_fmac_f32_e32 v126, 0xbf75a155, v19
	v_fma_f32 v154, 0x3ed4b147, v19, -v18
	;; [unrolled: 2-line block ×7, first 2 shown]
	v_fmac_f32_e32 v59, 0x3f575c64, v58
	v_add_f32_e32 v163, v10, v163
	v_fma_f32 v157, 0x3ed4b147, v54, -v130
	v_fmac_f32_e32 v130, 0x3ed4b147, v54
	v_add_f32_e32 v142, v11, v142
	v_fmac_f32_e32 v124, 0xbe11bafb, v19
	v_fma_f32 v19, 0xbf75a155, v54, -v127
	v_fmac_f32_e32 v127, 0xbf75a155, v54
	v_mul_f32_e32 v54, 0xbf68dda4, v53
	v_fmac_f32_e32 v135, 0x3ed4b147, v57
	v_mul_f32_e32 v160, 0x3e903f40, v53
	;; [unrolled: 2-line block ×3, first 2 shown]
	v_fma_f32 v172, 0xbf75a155, v67, -v68
	v_fmac_f32_e32 v68, 0xbf75a155, v67
	v_mul_f32_e32 v159, 0xbf4178ce, v53
	v_fma_f32 v173, 0xbe11bafb, v58, -v141
	v_add_f32_e32 v135, v10, v135
	v_add_f32_e32 v166, v10, v166
	;; [unrolled: 1-line block ×3, first 2 shown]
	v_fma_f32 v167, 0xbf27a4f4, v58, -v139
	v_fmac_f32_e32 v139, 0xbf27a4f4, v58
	v_mul_f32_e32 v161, 0x3f7d64f0, v53
	v_fma_f32 v53, 0x3f575c64, v57, -v134
	v_fmac_f32_e32 v134, 0x3f575c64, v57
	v_dual_fmac_f32 v55, 0xbf75a155, v57 :: v_dual_add_f32 v136, v10, v136
	v_fma_f32 v165, 0xbf27a4f4, v57, -v137
	v_fmac_f32_e32 v137, 0xbf27a4f4, v57
	v_fma_f32 v57, 0x3ed4b147, v58, -v138
	v_dual_fmac_f32 v138, 0x3ed4b147, v58 :: v_dual_add_f32 v53, v10, v53
	s_delay_alu instid0(VALU_DEP_4)
	v_add_f32_e32 v165, v10, v165
	v_add_f32_e32 v134, v10, v134
	v_fma_f32 v170, 0xbe11bafb, v67, -v144
	v_fmac_f32_e32 v141, 0xbe11bafb, v58
	v_add_f32_e32 v53, v57, v53
	v_fma_f32 v175, 0xbf27a4f4, v132, -v159
	v_add_f32_e32 v57, v138, v134
	v_add_f32_e32 v138, v174, v166
	v_dual_fmac_f32 v144, 0xbe11bafb, v67 :: v_dual_add_f32 v137, v10, v137
	v_add_f32_e32 v10, v10, v55
	v_fma_f32 v171, 0xbf27a4f4, v67, -v145
	v_fmac_f32_e32 v145, 0xbf27a4f4, v67
	v_fma_f32 v67, 0xbf75a155, v58, -v140
	v_fmac_f32_e32 v140, 0xbf75a155, v58
	v_add_f32_e32 v10, v59, v10
	v_fma_f32 v58, 0x3ed4b147, v132, -v54
	v_fmac_f32_e32 v54, 0x3ed4b147, v132
	v_add_f32_e32 v55, v11, v168
	v_add_f32_e32 v134, v139, v135
	;; [unrolled: 1-line block ×3, first 2 shown]
	v_fmac_f32_e32 v159, 0xbf27a4f4, v132
	v_fma_f32 v176, 0xbf75a155, v132, -v160
	v_add_f32_e32 v58, v58, v55
	v_dual_fmac_f32 v160, 0xbf75a155, v132 :: v_dual_add_f32 v145, v11, v145
	v_fma_f32 v177, 0xbe11bafb, v132, -v161
	v_dual_fmac_f32 v161, 0xbe11bafb, v132 :: v_dual_add_f32 v168, v11, v169
	v_add_f32_e32 v143, v11, v143
	v_fma_f32 v178, 0x3f575c64, v132, -v162
	v_add_f32_e32 v169, v11, v170
	v_add_f32_e32 v144, v11, v144
	;; [unrolled: 1-line block ×6, first 2 shown]
	v_dual_add_f32 v137, v141, v137 :: v_dual_fmac_f32 v162, 0x3f575c64, v132
	v_add_f32_e32 v59, v54, v142
	v_dual_add_f32 v54, v62, v57 :: v_dual_add_f32 v57, v63, v134
	v_dual_add_f32 v62, v148, v67 :: v_dual_add_f32 v53, v146, v53
	v_add_f32_e32 v65, v167, v163
	v_add_f32_e32 v67, v150, v138
	v_dual_add_f32 v135, v140, v136 :: v_dual_add_f32 v136, v173, v165
	v_add_f32_e32 v140, v159, v143
	v_dual_add_f32 v142, v160, v144 :: v_dual_add_f32 v1, v1, v98
	s_delay_alu instid0(VALU_DEP_3)
	v_dual_add_f32 v68, v162, v68 :: v_dual_add_f32 v63, v64, v135
	v_add_f32_e32 v5, v5, v10
	v_add_f32_e32 v10, v17, v53
	;; [unrolled: 1-line block ×3, first 2 shown]
	v_mul_f32_e32 v124, 0x3f68dda4, v133
	v_add_f32_e32 v55, v147, v65
	v_add_f32_e32 v65, v69, v137
	v_dual_add_f32 v11, v11, v75 :: v_dual_add_f32 v64, v149, v136
	v_add_f32_e32 v57, v125, v63
	s_delay_alu instid0(VALU_DEP_4) | instskip(NEXT) | instid1(VALU_DEP_4)
	v_add_f32_e32 v17, v151, v55
	v_add_f32_e32 v63, v126, v65
	s_delay_alu instid0(VALU_DEP_4) | instskip(SKIP_2) | instid1(VALU_DEP_4)
	v_add_f32_e32 v69, v11, v39
	v_dual_add_f32 v55, v19, v10 :: v_dual_mul_f32 v126, 0xbf4178ce, v133
	v_dual_add_f32 v139, v175, v168 :: v_dual_add_f32 v10, v129, v57
	v_add_f32_e32 v19, v130, v63
	v_add_f32_e32 v130, v82, v37
	;; [unrolled: 1-line block ×6, first 2 shown]
	v_dual_add_f32 v62, v153, v64 :: v_dual_add_f32 v141, v176, v169
	v_dual_mul_f32 v63, 0xbf7d64f0, v133 :: v_dual_add_f32 v64, v154, v67
	v_sub_f32_e32 v134, v47, v45
	s_delay_alu instid0(VALU_DEP_3) | instskip(SKIP_2) | instid1(VALU_DEP_4)
	v_add_f32_e32 v18, v157, v62
	v_add_f32_e32 v62, v85, v56
	;; [unrolled: 1-line block ×3, first 2 shown]
	v_dual_add_f32 v137, v46, v21 :: v_dual_mul_f32 v138, 0xbf68dda4, v134
	s_delay_alu instid0(VALU_DEP_3) | instskip(SKIP_3) | instid1(VALU_DEP_4)
	v_fma_f32 v123, 0xbe11bafb, v62, -v63
	v_fmac_f32_e32 v63, 0xbe11bafb, v62
	v_fma_f32 v129, 0xbf27a4f4, v62, -v126
	v_fmac_f32_e32 v126, 0xbf27a4f4, v62
	v_add_f32_e32 v58, v123, v58
	s_delay_alu instid0(VALU_DEP_4) | instskip(SKIP_4) | instid1(VALU_DEP_3)
	v_add_f32_e32 v59, v63, v59
	v_fma_f32 v63, 0x3ed4b147, v62, -v124
	v_fmac_f32_e32 v124, 0x3ed4b147, v62
	v_dual_add_f32 v68, v126, v68 :: v_dual_add_f32 v5, v128, v53
	v_dual_add_f32 v53, v158, v64 :: v_dual_add_f32 v64, v161, v145
	v_dual_add_f32 v124, v124, v142 :: v_dual_add_f32 v67, v1, v113
	v_add_f32_e32 v1, v127, v11
	v_sub_f32_e32 v127, v80, v81
	v_add_f32_e32 v11, v155, v17
	v_add_f32_e32 v17, v156, v54
	;; [unrolled: 1-line block ×3, first 2 shown]
	v_mul_f32_e32 v67, 0x3e903f40, v133
	v_dual_add_f32 v54, v131, v65 :: v_dual_add_f32 v65, v178, v171
	v_mul_f32_e32 v131, 0xbf4178ce, v127
	v_mul_f32_e32 v126, 0xbf0a6770, v127
	s_delay_alu instid0(VALU_DEP_4) | instskip(SKIP_2) | instid1(VALU_DEP_3)
	v_fma_f32 v125, 0xbf75a155, v62, -v67
	v_fmac_f32_e32 v67, 0xbf75a155, v62
	v_add_f32_e32 v63, v63, v141
	v_add_f32_e32 v123, v125, v139
	v_mul_f32_e32 v125, 0xbf0a6770, v133
	s_delay_alu instid0(VALU_DEP_4) | instskip(NEXT) | instid1(VALU_DEP_2)
	v_dual_add_f32 v67, v67, v140 :: v_dual_mul_f32 v140, 0x3e903f40, v134
	v_fma_f32 v128, 0x3f575c64, v62, -v125
	s_delay_alu instid0(VALU_DEP_1) | instskip(NEXT) | instid1(VALU_DEP_1)
	v_dual_fmac_f32 v125, 0x3f575c64, v62 :: v_dual_add_f32 v128, v128, v143
	v_add_f32_e32 v62, v125, v64
	v_add_f32_e32 v64, v129, v65
	v_fma_f32 v65, 0xbf27a4f4, v130, -v131
	v_mul_f32_e32 v125, 0x3f7d64f0, v127
	v_fma_f32 v129, 0x3f575c64, v130, -v126
	v_fmac_f32_e32 v126, 0x3f575c64, v130
	v_fmac_f32_e32 v131, 0xbf27a4f4, v130
	v_add_f32_e32 v58, v65, v58
	v_fma_f32 v65, 0xbe11bafb, v130, -v125
	s_delay_alu instid0(VALU_DEP_4) | instskip(SKIP_2) | instid1(VALU_DEP_4)
	v_dual_fmac_f32 v125, 0xbe11bafb, v130 :: v_dual_add_f32 v124, v126, v124
	v_sub_f32_e32 v126, v51, v49
	v_add_f32_e32 v69, v69, v37
	v_add_f32_e32 v65, v65, v123
	s_delay_alu instid0(VALU_DEP_4)
	v_add_f32_e32 v67, v125, v67
	v_add_f32_e32 v125, v129, v63
	v_mul_f32_e32 v63, 0x3f68dda4, v127
	v_mul_f32_e32 v123, 0xbe903f40, v127
	v_add_f32_e32 v129, v75, v39
	v_add_f32_e32 v69, v69, v56
	s_delay_alu instid0(VALU_DEP_4) | instskip(SKIP_2) | instid1(VALU_DEP_2)
	v_fma_f32 v132, 0x3ed4b147, v130, -v63
	v_fmac_f32_e32 v63, 0x3ed4b147, v130
	v_fma_f32 v127, 0xbf75a155, v130, -v123
	v_dual_fmac_f32 v123, 0xbf75a155, v130 :: v_dual_add_f32 v130, v63, v68
	s_delay_alu instid0(VALU_DEP_2) | instskip(NEXT) | instid1(VALU_DEP_2)
	v_dual_mul_f32 v68, 0xbf4178ce, v126 :: v_dual_add_f32 v127, v127, v128
	v_dual_add_f32 v128, v132, v64 :: v_dual_add_f32 v123, v123, v62
	v_mul_f32_e32 v64, 0x3f0a6770, v126
	s_delay_alu instid0(VALU_DEP_3) | instskip(SKIP_1) | instid1(VALU_DEP_1)
	v_fma_f32 v132, 0xbf27a4f4, v129, -v68
	v_fmac_f32_e32 v68, 0xbf27a4f4, v129
	v_add_f32_e32 v68, v68, v124
	v_dual_sub_f32 v124, v50, v78 :: v_dual_add_f32 v59, v131, v59
	v_mul_f32_e32 v131, 0xbe903f40, v126
	s_delay_alu instid0(VALU_DEP_2) | instskip(NEXT) | instid1(VALU_DEP_2)
	v_mul_f32_e32 v133, 0xbf4178ce, v124
	v_fma_f32 v62, 0xbf75a155, v129, -v131
	s_delay_alu instid0(VALU_DEP_1) | instskip(SKIP_1) | instid1(VALU_DEP_2)
	v_dual_fmac_f32 v131, 0xbf75a155, v129 :: v_dual_add_f32 v58, v62, v58
	v_fma_f32 v62, 0x3f575c64, v129, -v64
	v_dual_add_f32 v59, v131, v59 :: v_dual_fmac_f32 v64, 0x3f575c64, v129
	v_mul_f32_e32 v131, 0x3f68dda4, v126
	s_delay_alu instid0(VALU_DEP_2) | instskip(NEXT) | instid1(VALU_DEP_2)
	v_dual_add_f32 v63, v62, v65 :: v_dual_add_f32 v62, v64, v67
	v_fma_f32 v65, 0x3ed4b147, v129, -v131
	v_dual_mul_f32 v67, 0xbf7d64f0, v126 :: v_dual_add_f32 v64, v132, v125
	v_dual_fmac_f32 v131, 0x3ed4b147, v129 :: v_dual_add_f32 v126, v48, v32
	s_delay_alu instid0(VALU_DEP_3) | instskip(NEXT) | instid1(VALU_DEP_3)
	v_add_f32_e32 v125, v65, v127
	v_fma_f32 v65, 0xbe11bafb, v129, -v67
	v_fmac_f32_e32 v67, 0xbe11bafb, v129
	v_mul_f32_e32 v127, 0xbf0a6770, v124
	v_add_f32_e32 v123, v131, v123
	v_fma_f32 v135, 0xbf27a4f4, v126, -v133
	v_add_f32_e32 v128, v65, v128
	v_dual_mul_f32 v65, 0xbf68dda4, v124 :: v_dual_add_f32 v130, v67, v130
	v_mul_f32_e32 v67, 0xbf7d64f0, v124
	v_mul_f32_e32 v124, 0xbe903f40, v124
	v_fma_f32 v129, 0x3f575c64, v126, -v127
	v_fmac_f32_e32 v127, 0x3f575c64, v126
	v_fma_f32 v131, 0x3ed4b147, v126, -v65
	v_fmac_f32_e32 v65, 0x3ed4b147, v126
	;; [unrolled: 2-line block ×3, first 2 shown]
	v_fma_f32 v136, 0xbf75a155, v126, -v124
	v_dual_fmac_f32 v124, 0xbf75a155, v126 :: v_dual_add_f32 v141, v57, v61
	v_add_f32_e32 v57, v69, v33
	v_fmac_f32_e32 v133, 0xbf27a4f4, v126
	v_add_f32_e32 v129, v8, v129
	v_add_f32_e32 v127, v8, v127
	v_add_f32_e32 v131, v8, v131
	v_add_f32_e32 v65, v8, v65
	v_add_f32_e32 v132, v8, v132
	v_add_f32_e32 v67, v8, v67
	v_add_f32_e32 v135, v8, v135
	v_add_f32_e32 v126, v8, v133
	v_add_f32_e32 v133, v8, v136
	v_add_f32_e32 v124, v8, v124
	v_add_f32_e32 v8, v8, v48
	v_fma_f32 v136, 0x3ed4b147, v137, -v138
	v_fmac_f32_e32 v138, 0x3ed4b147, v137
	s_delay_alu instid0(VALU_DEP_3) | instskip(NEXT) | instid1(VALU_DEP_3)
	v_add_f32_e32 v8, v8, v46
	v_add_f32_e32 v129, v136, v129
	s_delay_alu instid0(VALU_DEP_3) | instskip(NEXT) | instid1(VALU_DEP_3)
	v_dual_add_f32 v127, v138, v127 :: v_dual_mul_f32 v138, 0x3f7d64f0, v134
	v_add_f32_e32 v8, v8, v42
	s_delay_alu instid0(VALU_DEP_1) | instskip(NEXT) | instid1(VALU_DEP_1)
	v_add_f32_e32 v8, v8, v40
	v_add_f32_e32 v8, v8, v36
	s_delay_alu instid0(VALU_DEP_1) | instskip(NEXT) | instid1(VALU_DEP_1)
	v_add_f32_e32 v8, v8, v34
	v_add_f32_e32 v8, v8, v20
	s_delay_alu instid0(VALU_DEP_1) | instskip(SKIP_2) | instid1(VALU_DEP_3)
	v_add_f32_e32 v8, v8, v22
	v_mul_f32_e32 v139, 0xbf4178ce, v134
	v_mul_f32_e32 v134, 0x3f0a6770, v134
	v_add_f32_e32 v8, v8, v21
	s_delay_alu instid0(VALU_DEP_3) | instskip(NEXT) | instid1(VALU_DEP_2)
	v_fma_f32 v136, 0xbf27a4f4, v137, -v139
	v_dual_fmac_f32 v139, 0xbf27a4f4, v137 :: v_dual_add_f32 v8, v8, v32
	s_delay_alu instid0(VALU_DEP_2) | instskip(SKIP_1) | instid1(VALU_DEP_3)
	v_add_f32_e32 v131, v136, v131
	v_fma_f32 v136, 0xbf75a155, v137, -v140
	v_add_f32_e32 v65, v139, v65
	v_dual_fmac_f32 v140, 0xbf75a155, v137 :: v_dual_sub_f32 v139, v44, v43
	s_delay_alu instid0(VALU_DEP_3) | instskip(SKIP_1) | instid1(VALU_DEP_3)
	v_add_f32_e32 v132, v136, v132
	v_fma_f32 v136, 0xbe11bafb, v137, -v138
	v_dual_fmac_f32 v138, 0xbe11bafb, v137 :: v_dual_add_f32 v67, v140, v67
	s_delay_alu instid0(VALU_DEP_4) | instskip(NEXT) | instid1(VALU_DEP_2)
	v_mul_f32_e32 v140, 0xbf7d64f0, v139
	v_dual_add_f32 v135, v136, v135 :: v_dual_add_f32 v126, v138, v126
	v_fma_f32 v136, 0x3f575c64, v137, -v134
	v_add_f32_e32 v138, v42, v22
	v_fmac_f32_e32 v134, 0x3f575c64, v137
	v_mul_f32_e32 v137, 0xbf0a6770, v139
	s_delay_alu instid0(VALU_DEP_4) | instskip(NEXT) | instid1(VALU_DEP_4)
	v_add_f32_e32 v69, v136, v133
	v_fma_f32 v133, 0xbe11bafb, v138, -v140
	v_mul_f32_e32 v136, 0x3e903f40, v139
	v_add_f32_e32 v124, v134, v124
	v_mul_f32_e32 v134, 0x3f68dda4, v139
	s_delay_alu instid0(VALU_DEP_4) | instskip(NEXT) | instid1(VALU_DEP_4)
	v_dual_fmac_f32 v140, 0xbe11bafb, v138 :: v_dual_add_f32 v129, v133, v129
	v_fma_f32 v133, 0xbf75a155, v138, -v136
	s_delay_alu instid0(VALU_DEP_2) | instskip(SKIP_1) | instid1(VALU_DEP_3)
	v_dual_fmac_f32 v136, 0xbf75a155, v138 :: v_dual_add_f32 v127, v140, v127
	v_add_f32_e32 v140, v57, v60
	v_add_f32_e32 v131, v133, v131
	v_fma_f32 v133, 0x3ed4b147, v138, -v134
	s_delay_alu instid0(VALU_DEP_4) | instskip(SKIP_1) | instid1(VALU_DEP_3)
	v_dual_fmac_f32 v134, 0x3ed4b147, v138 :: v_dual_add_f32 v65, v136, v65
	v_mul_f32_e32 v136, 0xbf4178ce, v139
	v_add_f32_e32 v132, v133, v132
	v_fma_f32 v133, 0x3f575c64, v138, -v137
	v_fmac_f32_e32 v137, 0x3f575c64, v138
	v_add_f32_e32 v67, v134, v67
	s_delay_alu instid0(VALU_DEP_3) | instskip(NEXT) | instid1(VALU_DEP_3)
	v_dual_sub_f32 v134, v38, v41 :: v_dual_add_f32 v133, v133, v135
	v_add_f32_e32 v126, v137, v126
	v_fma_f32 v135, 0xbf27a4f4, v138, -v136
	v_add_f32_e32 v137, v40, v20
	s_delay_alu instid0(VALU_DEP_4) | instskip(NEXT) | instid1(VALU_DEP_3)
	v_mul_f32_e32 v139, 0xbf4178ce, v134
	v_dual_fmac_f32 v136, 0xbf27a4f4, v138 :: v_dual_add_f32 v69, v135, v69
	v_mul_f32_e32 v135, 0x3f7d64f0, v134
	s_delay_alu instid0(VALU_DEP_3) | instskip(NEXT) | instid1(VALU_DEP_3)
	v_fma_f32 v138, 0xbf27a4f4, v137, -v139
	v_dual_add_f32 v124, v136, v124 :: v_dual_fmac_f32 v139, 0xbf27a4f4, v137
	s_delay_alu instid0(VALU_DEP_3) | instskip(NEXT) | instid1(VALU_DEP_3)
	v_fma_f32 v136, 0xbe11bafb, v137, -v135
	v_dual_add_f32 v129, v138, v129 :: v_dual_mul_f32 v138, 0xbf0a6770, v134
	s_delay_alu instid0(VALU_DEP_3) | instskip(SKIP_1) | instid1(VALU_DEP_4)
	v_add_f32_e32 v127, v139, v127
	v_fmac_f32_e32 v135, 0xbe11bafb, v137
	v_add_f32_e32 v131, v136, v131
	v_mul_f32_e32 v139, 0xbe903f40, v134
	v_fma_f32 v136, 0x3f575c64, v137, -v138
	v_fmac_f32_e32 v138, 0x3f575c64, v137
	v_dual_add_f32 v65, v135, v65 :: v_dual_mul_f32 v134, 0x3f68dda4, v134
	s_delay_alu instid0(VALU_DEP_4) | instskip(NEXT) | instid1(VALU_DEP_4)
	v_fma_f32 v135, 0xbf75a155, v137, -v139
	v_add_f32_e32 v132, v136, v132
	v_sub_f32_e32 v136, v3, v35
	v_add_f32_e32 v67, v138, v67
	v_fmac_f32_e32 v139, 0xbf75a155, v137
	v_add_f32_e32 v133, v135, v133
	s_delay_alu instid0(VALU_DEP_4) | instskip(NEXT) | instid1(VALU_DEP_3)
	v_dual_add_f32 v135, v36, v34 :: v_dual_mul_f32 v138, 0xbe903f40, v136
	v_add_f32_e32 v126, v139, v126
	v_fma_f32 v139, 0x3ed4b147, v137, -v134
	v_fmac_f32_e32 v134, 0x3ed4b147, v137
	s_delay_alu instid0(VALU_DEP_4) | instskip(SKIP_1) | instid1(VALU_DEP_4)
	v_fma_f32 v57, 0xbf75a155, v135, -v138
	v_mul_f32_e32 v137, 0x3f0a6770, v136
	v_dual_fmac_f32 v138, 0xbf75a155, v135 :: v_dual_add_f32 v69, v139, v69
	s_delay_alu instid0(VALU_DEP_3) | instskip(SKIP_1) | instid1(VALU_DEP_4)
	v_dual_add_f32 v124, v134, v124 :: v_dual_add_f32 v129, v57, v129
	v_mul_f32_e32 v57, 0xbf4178ce, v136
	v_fma_f32 v134, 0x3f575c64, v135, -v137
	v_fmac_f32_e32 v137, 0x3f575c64, v135
	v_add_f32_e32 v127, v138, v127
	s_delay_alu instid0(VALU_DEP_4) | instskip(SKIP_1) | instid1(VALU_DEP_4)
	v_fma_f32 v138, 0xbf27a4f4, v135, -v57
	v_fmac_f32_e32 v57, 0xbf27a4f4, v135
	v_dual_add_f32 v131, v134, v131 :: v_dual_add_f32 v134, v137, v65
	v_mul_f32_e32 v65, 0x3f68dda4, v136
	s_delay_alu instid0(VALU_DEP_3) | instskip(SKIP_1) | instid1(VALU_DEP_3)
	v_dual_mul_f32 v136, 0xbf7d64f0, v136 :: v_dual_add_f32 v137, v57, v67
	v_dual_add_f32 v132, v138, v132 :: v_dual_and_b32 v57, 0xffff, v111
	v_fma_f32 v67, 0x3ed4b147, v135, -v65
	v_fmac_f32_e32 v65, 0x3ed4b147, v135
	s_delay_alu instid0(VALU_DEP_4) | instskip(NEXT) | instid1(VALU_DEP_4)
	v_fma_f32 v111, 0xbe11bafb, v135, -v136
	v_mul_u32_u24_e32 v57, 0x134, v57
	s_delay_alu instid0(VALU_DEP_4) | instskip(NEXT) | instid1(VALU_DEP_4)
	v_dual_fmac_f32 v136, 0xbe11bafb, v135 :: v_dual_add_f32 v133, v67, v133
	v_dual_add_f32 v126, v65, v126 :: v_dual_and_b32 v65, 0xffff, v103
	s_delay_alu instid0(VALU_DEP_3)
	v_add3_u32 v57, 0, v57, v112
	v_and_b32_e32 v67, 0xffff, v104
	v_add_f32_e32 v69, v111, v69
	v_add_f32_e32 v111, v136, v124
	ds_store_2addr_b32 v57, v141, v55 offset1:7
	v_mul_u32_u24_e32 v55, 0x134, v65
	v_lshlrev_b32_e32 v65, 2, v106
	ds_store_2addr_b32 v57, v11, v17 offset0:14 offset1:21
	ds_store_2addr_b32 v57, v18, v53 offset0:28 offset1:35
	;; [unrolled: 1-line block ×3, first 2 shown]
	v_mul_u32_u24_e32 v11, 0x134, v67
	v_lshlrev_b32_e32 v17, 2, v109
	v_add3_u32 v65, 0, v55, v65
	ds_store_2addr_b32 v57, v10, v5 offset0:56 offset1:63
	ds_store_b32 v57, v1 offset:280
	ds_store_2addr_b32 v65, v140, v58 offset1:7
	ds_store_2addr_b32 v65, v63, v64 offset0:14 offset1:21
	v_lshlrev_b32_e32 v10, 2, v121
	v_add3_u32 v67, 0, v11, v17
	v_and_b32_e32 v11, 0xffff, v120
	ds_store_2addr_b32 v65, v125, v128 offset0:28 offset1:35
	ds_store_2addr_b32 v65, v130, v123 offset0:42 offset1:49
	;; [unrolled: 1-line block ×3, first 2 shown]
	ds_store_b32 v65, v59 offset:280
	ds_store_2addr_b32 v67, v8, v129 offset1:7
	ds_store_2addr_b32 v67, v131, v132 offset0:14 offset1:21
	ds_store_2addr_b32 v67, v133, v69 offset0:28 offset1:35
	;; [unrolled: 1-line block ×4, first 2 shown]
	ds_store_b32 v67, v127 offset:280
	s_and_saveexec_b32 s1, s0
	s_cbranch_execz .LBB0_17
; %bb.16:
	v_dual_sub_f32 v1, v77, v70 :: v_dual_add_f32 v18, v28, v12
	v_dual_add_f32 v5, v31, v52 :: v_dual_add_f32 v8, v29, v13
	v_dual_sub_f32 v17, v76, v73 :: v_dual_add_f32 v54, v23, v16
	s_delay_alu instid0(VALU_DEP_3) | instskip(NEXT) | instid1(VALU_DEP_2)
	v_dual_mul_f32 v19, 0xbe903f40, v1 :: v_dual_add_f32 v62, v14, v15
	v_dual_sub_f32 v53, v74, v72 :: v_dual_mul_f32 v58, 0x3f0a6770, v17
	v_sub_f32_e32 v55, v66, v71
	s_delay_alu instid0(VALU_DEP_3) | instskip(SKIP_1) | instid1(VALU_DEP_4)
	v_fmamk_f32 v59, v5, 0xbf75a155, v19
	v_fma_f32 v19, 0xbf75a155, v5, -v19
	v_dual_mul_f32 v64, 0xbf4178ce, v53 :: v_dual_sub_f32 v63, v9, v30
	v_fmamk_f32 v68, v8, 0x3f575c64, v58
	v_fma_f32 v58, 0x3f575c64, v8, -v58
	s_delay_alu instid0(VALU_DEP_3) | instskip(SKIP_2) | instid1(VALU_DEP_3)
	v_dual_add_f32 v19, v4, v19 :: v_dual_fmamk_f32 v106, v18, 0xbf27a4f4, v64
	v_mul_f32_e32 v104, 0xbf4178ce, v1
	v_fma_f32 v64, 0xbf27a4f4, v18, -v64
	v_dual_mul_f32 v112, 0xbf4178ce, v17 :: v_dual_add_f32 v19, v58, v19
	v_dual_mul_f32 v120, 0x3e903f40, v53 :: v_dual_add_f32 v121, v4, v31
	s_delay_alu instid0(VALU_DEP_2) | instskip(SKIP_1) | instid1(VALU_DEP_1)
	v_dual_mul_f32 v58, 0xbf0a6770, v53 :: v_dual_add_f32 v19, v64, v19
	v_fma_f32 v64, 0xbf27a4f4, v5, -v104
	v_add_f32_e32 v64, v4, v64
	v_add_f32_e32 v59, v4, v59
	v_mul_f32_e32 v69, 0x3f68dda4, v55
	s_delay_alu instid0(VALU_DEP_2) | instskip(NEXT) | instid1(VALU_DEP_2)
	v_dual_add_f32 v59, v68, v59 :: v_dual_mul_f32 v68, 0x3f7d64f0, v17
	v_fmamk_f32 v109, v54, 0x3ed4b147, v69
	v_fmamk_f32 v111, v5, 0xbf27a4f4, v104
	s_delay_alu instid0(VALU_DEP_3) | instskip(NEXT) | instid1(VALU_DEP_2)
	v_add_f32_e32 v59, v106, v59
	v_add_f32_e32 v111, v4, v111
	s_delay_alu instid0(VALU_DEP_2) | instskip(SKIP_2) | instid1(VALU_DEP_2)
	v_add_f32_e32 v59, v109, v59
	v_fmamk_f32 v109, v8, 0xbe11bafb, v68
	v_fma_f32 v68, 0xbe11bafb, v8, -v68
	v_add_f32_e32 v104, v109, v111
	s_delay_alu instid0(VALU_DEP_2) | instskip(SKIP_2) | instid1(VALU_DEP_1)
	v_dual_add_f32 v64, v68, v64 :: v_dual_mul_f32 v103, 0xbf7d64f0, v63
	v_mul_f32_e32 v109, 0xbe903f40, v55
	v_fma_f32 v69, 0x3ed4b147, v54, -v69
	v_dual_fmamk_f32 v106, v62, 0xbe11bafb, v103 :: v_dual_add_f32 v19, v69, v19
	s_delay_alu instid0(VALU_DEP_1) | instskip(SKIP_2) | instid1(VALU_DEP_1)
	v_add_f32_e32 v59, v106, v59
	v_fmamk_f32 v106, v18, 0x3f575c64, v58
	v_fma_f32 v58, 0x3f575c64, v18, -v58
	v_add_f32_e32 v58, v58, v64
	v_fma_f32 v68, 0xbe11bafb, v62, -v103
	v_mul_f32_e32 v103, 0xbf7d64f0, v1
	v_fma_f32 v64, 0xbf75a155, v54, -v109
	v_dual_add_f32 v69, v106, v104 :: v_dual_mul_f32 v106, 0x3f68dda4, v63
	s_delay_alu instid0(VALU_DEP_2) | instskip(NEXT) | instid1(VALU_DEP_4)
	v_add_f32_e32 v58, v64, v58
	v_fma_f32 v64, 0xbe11bafb, v5, -v103
	s_delay_alu instid0(VALU_DEP_1) | instskip(SKIP_3) | instid1(VALU_DEP_3)
	v_add_f32_e32 v64, v4, v64
	v_fmamk_f32 v104, v54, 0xbf75a155, v109
	v_mul_f32_e32 v109, 0x3e903f40, v17
	v_mul_f32_e32 v17, 0xbf68dda4, v17
	v_dual_add_f32 v69, v104, v69 :: v_dual_fmamk_f32 v104, v62, 0x3ed4b147, v106
	v_dual_add_f32 v19, v68, v19 :: v_dual_fmamk_f32 v68, v5, 0xbe11bafb, v103
	v_fma_f32 v106, 0x3ed4b147, v62, -v106
	v_fmamk_f32 v103, v8, 0xbf75a155, v109
	s_delay_alu instid0(VALU_DEP_3) | instskip(NEXT) | instid1(VALU_DEP_3)
	v_add_f32_e32 v68, v4, v68
	v_dual_add_f32 v58, v106, v58 :: v_dual_add_f32 v69, v104, v69
	v_mul_f32_e32 v106, 0xbf4178ce, v63
	v_mul_f32_e32 v104, 0x3f68dda4, v53
	s_delay_alu instid0(VALU_DEP_4) | instskip(NEXT) | instid1(VALU_DEP_2)
	v_dual_add_f32 v68, v103, v68 :: v_dual_mul_f32 v53, 0xbf7d64f0, v53
	v_fmamk_f32 v103, v18, 0x3ed4b147, v104
	v_fma_f32 v104, 0x3ed4b147, v18, -v104
	s_delay_alu instid0(VALU_DEP_2) | instskip(SKIP_1) | instid1(VALU_DEP_1)
	v_add_f32_e32 v68, v103, v68
	v_fma_f32 v109, 0xbf75a155, v8, -v109
	v_dual_mul_f32 v111, 0xbf0a6770, v55 :: v_dual_add_f32 v64, v109, v64
	s_delay_alu instid0(VALU_DEP_1) | instskip(NEXT) | instid1(VALU_DEP_1)
	v_dual_add_f32 v64, v104, v64 :: v_dual_fmamk_f32 v103, v54, 0x3f575c64, v111
	v_add_f32_e32 v68, v103, v68
	v_fma_f32 v104, 0x3f575c64, v54, -v111
	s_delay_alu instid0(VALU_DEP_1) | instskip(SKIP_2) | instid1(VALU_DEP_2)
	v_dual_fmamk_f32 v103, v62, 0xbf27a4f4, v106 :: v_dual_add_f32 v64, v104, v64
	v_fma_f32 v104, 0xbf27a4f4, v62, -v106
	v_mul_f32_e32 v109, 0xbf68dda4, v1
	v_dual_mul_f32 v1, 0xbf0a6770, v1 :: v_dual_add_f32 v64, v104, v64
	s_delay_alu instid0(VALU_DEP_2) | instskip(NEXT) | instid1(VALU_DEP_1)
	v_fma_f32 v106, 0x3ed4b147, v5, -v109
	v_add_f32_e32 v104, v4, v106
	v_fma_f32 v106, 0xbf27a4f4, v8, -v112
	s_delay_alu instid0(VALU_DEP_1) | instskip(SKIP_1) | instid1(VALU_DEP_1)
	v_add_f32_e32 v104, v106, v104
	v_fma_f32 v106, 0xbf75a155, v18, -v120
	v_dual_fmamk_f32 v111, v5, 0x3ed4b147, v109 :: v_dual_add_f32 v104, v106, v104
	s_delay_alu instid0(VALU_DEP_1) | instskip(SKIP_1) | instid1(VALU_DEP_1)
	v_add_f32_e32 v109, v4, v111
	v_fmamk_f32 v111, v8, 0xbf27a4f4, v112
	v_dual_mul_f32 v112, 0x3f7d64f0, v55 :: v_dual_add_f32 v109, v111, v109
	v_dual_fmamk_f32 v111, v18, 0xbf75a155, v120 :: v_dual_add_f32 v120, v121, v29
	s_delay_alu instid0(VALU_DEP_2) | instskip(NEXT) | instid1(VALU_DEP_2)
	v_fma_f32 v106, 0xbe11bafb, v54, -v112
	v_add_f32_e32 v109, v111, v109
	s_delay_alu instid0(VALU_DEP_3) | instskip(NEXT) | instid1(VALU_DEP_3)
	v_dual_fmamk_f32 v111, v54, 0xbe11bafb, v112 :: v_dual_add_f32 v112, v120, v28
	v_add_f32_e32 v104, v106, v104
	v_fma_f32 v106, 0x3f575c64, v5, -v1
	s_delay_alu instid0(VALU_DEP_3) | instskip(SKIP_1) | instid1(VALU_DEP_3)
	v_dual_fmamk_f32 v1, v5, 0x3f575c64, v1 :: v_dual_add_f32 v112, v112, v23
	v_mul_f32_e32 v121, 0x3f0a6770, v63
	v_add_f32_e32 v5, v4, v106
	v_add_f32_e32 v109, v111, v109
	s_delay_alu instid0(VALU_DEP_4)
	v_add_f32_e32 v1, v4, v1
	v_add_f32_e32 v106, v112, v14
	v_fma_f32 v112, 0x3ed4b147, v8, -v17
	v_fmamk_f32 v4, v8, 0x3ed4b147, v17
	v_fma_f32 v120, 0x3f575c64, v62, -v121
	v_mul_f32_e32 v55, 0xbf4178ce, v55
	v_add_f32_e32 v8, v106, v15
	v_fmamk_f32 v111, v62, 0x3f575c64, v121
	v_add_f32_e32 v1, v4, v1
	s_delay_alu instid0(VALU_DEP_3) | instskip(NEXT) | instid1(VALU_DEP_1)
	v_add_f32_e32 v4, v8, v16
	v_add_f32_e32 v4, v4, v12
	s_delay_alu instid0(VALU_DEP_1) | instskip(NEXT) | instid1(VALU_DEP_1)
	v_add_f32_e32 v4, v4, v13
	v_add_f32_e32 v4, v4, v52
	v_fma_f32 v17, 0xbe11bafb, v18, -v53
	v_dual_fmamk_f32 v8, v18, 0xbe11bafb, v53 :: v_dual_add_f32 v5, v112, v5
	v_mul_f32_e32 v18, 0xbe903f40, v63
	v_mul_u32_u24_e32 v53, 0x134, v11
	s_delay_alu instid0(VALU_DEP_3) | instskip(NEXT) | instid1(VALU_DEP_4)
	v_dual_add_f32 v1, v8, v1 :: v_dual_fmamk_f32 v8, v54, 0xbf27a4f4, v55
	v_add_f32_e32 v5, v17, v5
	v_fma_f32 v17, 0xbf27a4f4, v54, -v55
	v_add_f32_e32 v54, v111, v109
	s_delay_alu instid0(VALU_DEP_4) | instskip(NEXT) | instid1(VALU_DEP_3)
	v_dual_add_f32 v1, v8, v1 :: v_dual_fmamk_f32 v8, v62, 0xbf75a155, v18
	v_add_f32_e32 v5, v17, v5
	v_fma_f32 v17, 0xbf75a155, v62, -v18
	v_add_f32_e32 v18, v120, v104
	s_delay_alu instid0(VALU_DEP_4) | instskip(NEXT) | instid1(VALU_DEP_3)
	v_add_f32_e32 v1, v8, v1
	v_add_f32_e32 v5, v17, v5
	v_add3_u32 v17, 0, v53, v10
	v_add_f32_e32 v53, v103, v68
	ds_store_2addr_b32 v17, v4, v5 offset1:7
	ds_store_2addr_b32 v17, v18, v64 offset0:14 offset1:21
	ds_store_2addr_b32 v17, v58, v19 offset0:28 offset1:35
	;; [unrolled: 1-line block ×4, first 2 shown]
	ds_store_b32 v17, v1 offset:280
.LBB0_17:
	s_or_b32 exec_lo, exec_lo, s1
	v_dual_add_f32 v1, v6, v118 :: v_dual_sub_f32 v4, v119, v61
	v_dual_add_f32 v8, v114, v117 :: v_dual_sub_f32 v17, v115, v122
	v_add_f32_e32 v5, v118, v116
	s_delay_alu instid0(VALU_DEP_3) | instskip(SKIP_1) | instid1(VALU_DEP_4)
	v_dual_add_f32 v1, v1, v114 :: v_dual_mul_f32 v18, 0xbf0a6770, v4
	v_mul_f32_e32 v54, 0xbf4178ce, v4
	v_mul_f32_e32 v58, 0xbf4178ce, v17
	v_sub_f32_e32 v33, v93, v33
	s_delay_alu instid0(VALU_DEP_4)
	v_add_f32_e32 v1, v1, v105
	v_fmamk_f32 v61, v5, 0x3f575c64, v18
	v_fma_f32 v18, 0x3f575c64, v5, -v18
	v_mul_f32_e32 v19, 0xbf68dda4, v4
	v_fmamk_f32 v69, v8, 0xbf27a4f4, v58
	v_add_f32_e32 v1, v1, v99
	s_delay_alu instid0(VALU_DEP_4) | instskip(NEXT) | instid1(VALU_DEP_4)
	v_dual_sub_f32 v39, v75, v39 :: v_dual_add_f32 v18, v6, v18
	v_fmamk_f32 v62, v5, 0x3ed4b147, v19
	v_mul_f32_e32 v53, 0xbf7d64f0, v4
	v_mul_f32_e32 v4, 0xbe903f40, v4
	v_fma_f32 v19, 0x3ed4b147, v5, -v19
	v_fmamk_f32 v64, v5, 0xbf27a4f4, v54
	v_fma_f32 v54, 0xbf27a4f4, v5, -v54
	v_mul_f32_e32 v59, 0x3e903f40, v17
	v_fmamk_f32 v68, v5, 0xbf75a155, v4
	v_fma_f32 v4, 0xbf75a155, v5, -v4
	v_add_f32_e32 v19, v6, v19
	v_dual_mul_f32 v55, 0xbf68dda4, v17 :: v_dual_add_f32 v64, v6, v64
	v_add_f32_e32 v54, v6, v54
	s_delay_alu instid0(VALU_DEP_4)
	v_add_f32_e32 v4, v6, v4
	v_add_f32_e32 v61, v6, v61
	v_dual_add_f32 v62, v6, v62 :: v_dual_fmamk_f32 v63, v5, 0xbe11bafb, v53
	v_fma_f32 v53, 0xbe11bafb, v5, -v53
	v_fmamk_f32 v5, v8, 0x3ed4b147, v55
	v_fma_f32 v55, 0x3ed4b147, v8, -v55
	v_add_f32_e32 v1, v1, v95
	v_add_f32_e32 v63, v6, v63
	;; [unrolled: 1-line block ×3, first 2 shown]
	s_delay_alu instid0(VALU_DEP_4) | instskip(NEXT) | instid1(VALU_DEP_4)
	v_dual_add_f32 v103, v6, v68 :: v_dual_add_f32 v6, v55, v18
	v_dual_add_f32 v1, v1, v96 :: v_dual_fmamk_f32 v18, v8, 0xbf75a155, v59
	v_add_f32_e32 v55, v69, v62
	v_dual_add_f32 v62, v105, v110 :: v_dual_sub_f32 v21, v46, v21
	s_delay_alu instid0(VALU_DEP_3) | instskip(SKIP_4) | instid1(VALU_DEP_1)
	v_dual_add_f32 v1, v1, v102 :: v_dual_add_f32 v18, v18, v63
	s_waitcnt lgkmcnt(0)
	s_barrier
	buffer_gl0_inv
	v_add_f32_e32 v1, v1, v110
	v_add_f32_e32 v1, v1, v117
	s_delay_alu instid0(VALU_DEP_1) | instskip(SKIP_3) | instid1(VALU_DEP_3)
	v_add_f32_e32 v68, v1, v116
	v_fma_f32 v1, 0xbf27a4f4, v8, -v58
	v_add_f32_e32 v5, v5, v61
	v_fma_f32 v58, 0xbf75a155, v8, -v59
	v_add_f32_e32 v1, v1, v19
	v_mul_f32_e32 v19, 0x3f7d64f0, v17
	v_mul_f32_e32 v17, 0x3f0a6770, v17
	s_delay_alu instid0(VALU_DEP_2) | instskip(SKIP_1) | instid1(VALU_DEP_3)
	v_fmamk_f32 v59, v8, 0xbe11bafb, v19
	v_fma_f32 v19, 0xbe11bafb, v8, -v19
	v_fmamk_f32 v61, v8, 0x3f575c64, v17
	v_fma_f32 v8, 0x3f575c64, v8, -v17
	s_delay_alu instid0(VALU_DEP_1) | instskip(SKIP_2) | instid1(VALU_DEP_1)
	v_dual_add_f32 v17, v19, v54 :: v_dual_add_f32 v4, v8, v4
	v_add_f32_e32 v53, v58, v53
	v_sub_f32_e32 v58, v108, v113
	v_mul_f32_e32 v63, 0xbf7d64f0, v58
	s_delay_alu instid0(VALU_DEP_1) | instskip(SKIP_2) | instid1(VALU_DEP_2)
	v_fmamk_f32 v54, v62, 0xbe11bafb, v63
	v_fma_f32 v8, 0xbe11bafb, v62, -v63
	v_mul_f32_e32 v63, 0x3f68dda4, v58
	v_add_f32_e32 v6, v8, v6
	s_delay_alu instid0(VALU_DEP_2) | instskip(SKIP_1) | instid1(VALU_DEP_2)
	v_fmamk_f32 v8, v62, 0x3ed4b147, v63
	v_fma_f32 v63, 0x3ed4b147, v62, -v63
	v_add_f32_e32 v8, v8, v18
	s_delay_alu instid0(VALU_DEP_2) | instskip(SKIP_4) | instid1(VALU_DEP_3)
	v_add_f32_e32 v18, v63, v53
	v_add_f32_e32 v63, v99, v102
	v_sub_f32_e32 v53, v101, v107
	v_add_f32_e32 v59, v59, v64
	v_add_f32_e32 v5, v54, v5
	v_dual_mul_f32 v64, 0xbf4178ce, v53 :: v_dual_add_f32 v19, v61, v103
	v_mul_f32_e32 v61, 0x3e903f40, v58
	s_delay_alu instid0(VALU_DEP_1) | instskip(SKIP_1) | instid1(VALU_DEP_2)
	v_fmamk_f32 v54, v62, 0xbf75a155, v61
	v_fma_f32 v61, 0xbf75a155, v62, -v61
	v_dual_add_f32 v54, v54, v55 :: v_dual_mul_f32 v55, 0xbf0a6770, v58
	s_delay_alu instid0(VALU_DEP_2) | instskip(NEXT) | instid1(VALU_DEP_2)
	v_dual_add_f32 v1, v61, v1 :: v_dual_mul_f32 v58, 0xbf4178ce, v58
	v_fmamk_f32 v61, v62, 0x3f575c64, v55
	v_fma_f32 v55, 0x3f575c64, v62, -v55
	s_delay_alu instid0(VALU_DEP_3) | instskip(NEXT) | instid1(VALU_DEP_3)
	v_fmamk_f32 v69, v62, 0xbf27a4f4, v58
	v_add_f32_e32 v59, v61, v59
	s_delay_alu instid0(VALU_DEP_3) | instskip(SKIP_4) | instid1(VALU_DEP_3)
	v_add_f32_e32 v17, v55, v17
	v_fma_f32 v55, 0xbf27a4f4, v62, -v58
	v_fmamk_f32 v58, v63, 0xbf27a4f4, v64
	v_fma_f32 v61, 0xbf27a4f4, v63, -v64
	v_mul_f32_e32 v62, 0x3f7d64f0, v53
	v_dual_add_f32 v4, v55, v4 :: v_dual_add_f32 v5, v58, v5
	s_delay_alu instid0(VALU_DEP_3) | instskip(NEXT) | instid1(VALU_DEP_3)
	v_add_f32_e32 v6, v61, v6
	v_fmamk_f32 v58, v63, 0xbe11bafb, v62
	v_fma_f32 v61, 0xbe11bafb, v63, -v62
	v_mul_f32_e32 v62, 0xbe903f40, v53
	s_delay_alu instid0(VALU_DEP_3) | instskip(NEXT) | instid1(VALU_DEP_2)
	v_add_f32_e32 v54, v58, v54
	v_fmamk_f32 v58, v63, 0xbf75a155, v62
	v_mul_f32_e32 v55, 0xbf0a6770, v53
	v_mul_f32_e32 v53, 0x3f68dda4, v53
	s_delay_alu instid0(VALU_DEP_2) | instskip(SKIP_1) | instid1(VALU_DEP_2)
	v_fmamk_f32 v64, v63, 0x3f575c64, v55
	v_fma_f32 v55, 0x3f575c64, v63, -v55
	v_add_f32_e32 v8, v64, v8
	s_delay_alu instid0(VALU_DEP_2)
	v_add_f32_e32 v18, v55, v18
	v_fma_f32 v55, 0xbf75a155, v63, -v62
	v_fmamk_f32 v62, v63, 0x3ed4b147, v53
	v_dual_add_f32 v58, v58, v59 :: v_dual_sub_f32 v59, v97, v98
	v_add_f32_e32 v1, v61, v1
	v_add_f32_e32 v61, v7, v94
	v_fma_f32 v53, 0x3ed4b147, v63, -v53
	v_add_f32_e32 v19, v69, v19
	v_dual_mul_f32 v64, 0xbe903f40, v59 :: v_dual_add_f32 v17, v55, v17
	v_add_f32_e32 v55, v95, v96
	v_add_f32_e32 v61, v61, v86
	s_delay_alu instid0(VALU_DEP_2) | instskip(SKIP_1) | instid1(VALU_DEP_3)
	v_dual_add_f32 v4, v53, v4 :: v_dual_fmamk_f32 v63, v55, 0xbf75a155, v64
	v_fma_f32 v64, 0xbf75a155, v55, -v64
	v_add_f32_e32 v61, v61, v83
	s_delay_alu instid0(VALU_DEP_3) | instskip(NEXT) | instid1(VALU_DEP_3)
	v_add_f32_e32 v95, v63, v5
	v_dual_add_f32 v69, v64, v6 :: v_dual_mul_f32 v6, 0xbf4178ce, v59
	s_delay_alu instid0(VALU_DEP_3) | instskip(SKIP_2) | instid1(VALU_DEP_4)
	v_add_f32_e32 v5, v61, v80
	v_add_nc_u32_e32 v63, 0x1a00, v25
	v_add_nc_u32_e32 v64, 0x1400, v25
	v_fmamk_f32 v61, v55, 0xbf27a4f4, v6
	v_fma_f32 v6, 0xbf27a4f4, v55, -v6
	v_add_f32_e32 v5, v5, v51
	s_delay_alu instid0(VALU_DEP_2) | instskip(SKIP_1) | instid1(VALU_DEP_1)
	v_dual_add_f32 v99, v61, v8 :: v_dual_add_f32 v98, v6, v18
	v_mul_f32_e32 v6, 0xbf7d64f0, v59
	v_dual_add_f32 v19, v62, v19 :: v_dual_fmamk_f32 v18, v55, 0xbe11bafb, v6
	v_mul_f32_e32 v62, 0x3f0a6770, v59
	s_delay_alu instid0(VALU_DEP_1) | instskip(NEXT) | instid1(VALU_DEP_1)
	v_fmamk_f32 v53, v55, 0x3f575c64, v62
	v_add_f32_e32 v96, v53, v54
	v_fma_f32 v53, 0x3f575c64, v55, -v62
	v_mul_f32_e32 v54, 0x3f68dda4, v59
	v_mul_f32_e32 v59, 0xbf68dda4, v33
	s_delay_alu instid0(VALU_DEP_3) | instskip(SKIP_1) | instid1(VALU_DEP_4)
	v_add_f32_e32 v97, v53, v1
	v_add_f32_e32 v1, v5, v49
	v_fmamk_f32 v5, v55, 0x3ed4b147, v54
	v_fma_f32 v8, 0x3ed4b147, v55, -v54
	v_add_f32_e32 v53, v94, v100
	s_delay_alu instid0(VALU_DEP_3) | instskip(NEXT) | instid1(VALU_DEP_3)
	v_dual_add_f32 v101, v5, v58 :: v_dual_add_f32 v58, v86, v79
	v_dual_sub_f32 v5, v87, v60 :: v_dual_add_f32 v60, v8, v17
	v_fma_f32 v6, 0xbe11bafb, v55, -v6
	s_delay_alu instid0(VALU_DEP_3) | instskip(NEXT) | instid1(VALU_DEP_3)
	v_fmamk_f32 v61, v58, 0x3ed4b147, v59
	v_mul_f32_e32 v54, 0xbf0a6770, v5
	s_delay_alu instid0(VALU_DEP_3) | instskip(SKIP_1) | instid1(VALU_DEP_3)
	v_add_f32_e32 v94, v6, v4
	v_mul_f32_e32 v4, 0xbf68dda4, v5
	v_fma_f32 v6, 0x3f575c64, v53, -v54
	v_fmamk_f32 v8, v53, 0x3f575c64, v54
	s_delay_alu instid0(VALU_DEP_3) | instskip(SKIP_1) | instid1(VALU_DEP_4)
	v_fmamk_f32 v17, v53, 0x3ed4b147, v4
	v_fma_f32 v4, 0x3ed4b147, v53, -v4
	v_dual_add_f32 v6, v7, v6 :: v_dual_add_f32 v1, v1, v81
	s_delay_alu instid0(VALU_DEP_3) | instskip(NEXT) | instid1(VALU_DEP_3)
	v_add_f32_e32 v17, v7, v17
	v_add_f32_e32 v4, v7, v4
	s_delay_alu instid0(VALU_DEP_3) | instskip(NEXT) | instid1(VALU_DEP_1)
	v_add_f32_e32 v1, v1, v84
	v_add_f32_e32 v1, v1, v79
	s_delay_alu instid0(VALU_DEP_1) | instskip(SKIP_3) | instid1(VALU_DEP_3)
	v_dual_add_f32 v100, v1, v100 :: v_dual_add_f32 v87, v18, v19
	v_dual_add_f32 v1, v7, v8 :: v_dual_mul_f32 v8, 0xbf7d64f0, v5
	v_mul_f32_e32 v18, 0xbf4178ce, v5
	v_mul_f32_e32 v5, 0xbe903f40, v5
	v_fmamk_f32 v19, v53, 0xbe11bafb, v8
	v_fma_f32 v8, 0xbe11bafb, v53, -v8
	s_delay_alu instid0(VALU_DEP_4)
	v_fmamk_f32 v54, v53, 0xbf27a4f4, v18
	v_fma_f32 v18, 0xbf27a4f4, v53, -v18
	v_fmamk_f32 v55, v53, 0xbf75a155, v5
	v_fma_f32 v5, 0xbf75a155, v53, -v5
	v_add_f32_e32 v19, v7, v19
	v_add_f32_e32 v8, v7, v8
	;; [unrolled: 1-line block ×5, first 2 shown]
	v_mul_f32_e32 v55, 0xbf4178ce, v33
	v_add_f32_e32 v5, v7, v5
	v_fma_f32 v7, 0x3ed4b147, v58, -v59
	v_mul_f32_e32 v59, 0x3e903f40, v33
	s_delay_alu instid0(VALU_DEP_4) | instskip(SKIP_1) | instid1(VALU_DEP_3)
	v_fmamk_f32 v62, v58, 0xbf27a4f4, v55
	v_fma_f32 v55, 0xbf27a4f4, v58, -v55
	v_dual_add_f32 v6, v7, v6 :: v_dual_fmamk_f32 v7, v58, 0xbf75a155, v59
	v_fma_f32 v59, 0xbf75a155, v58, -v59
	s_delay_alu instid0(VALU_DEP_3) | instskip(SKIP_1) | instid1(VALU_DEP_4)
	v_dual_add_f32 v17, v62, v17 :: v_dual_add_f32 v4, v55, v4
	v_mul_f32_e32 v55, 0x3f7d64f0, v33
	v_add_f32_e32 v7, v7, v19
	v_mul_f32_e32 v19, 0x3f0a6770, v33
	v_sub_f32_e32 v33, v85, v56
	v_add_f32_e32 v8, v59, v8
	v_fmamk_f32 v56, v58, 0xbe11bafb, v55
	v_fma_f32 v55, 0xbe11bafb, v58, -v55
	v_fmamk_f32 v59, v58, 0x3f575c64, v19
	v_mul_f32_e32 v62, 0xbf7d64f0, v33
	v_fma_f32 v19, 0x3f575c64, v58, -v19
	v_mul_f32_e32 v58, 0x3f68dda4, v33
	v_add_f32_e32 v1, v61, v1
	v_dual_add_f32 v61, v83, v84 :: v_dual_add_f32 v54, v56, v54
	v_add_f32_e32 v18, v55, v18
	v_mul_f32_e32 v56, 0x3e903f40, v33
	v_add_f32_e32 v5, v19, v5
	s_delay_alu instid0(VALU_DEP_4) | instskip(SKIP_2) | instid1(VALU_DEP_3)
	v_fmamk_f32 v55, v61, 0xbe11bafb, v62
	v_fma_f32 v19, 0xbe11bafb, v61, -v62
	v_add_nc_u32_e32 v62, 0x800, v25
	v_add_f32_e32 v1, v55, v1
	s_delay_alu instid0(VALU_DEP_3) | instskip(SKIP_3) | instid1(VALU_DEP_4)
	v_dual_fmamk_f32 v55, v61, 0xbf75a155, v56 :: v_dual_add_f32 v6, v19, v6
	v_fmamk_f32 v19, v61, 0x3ed4b147, v58
	v_fma_f32 v56, 0xbf75a155, v61, -v56
	v_fma_f32 v58, 0x3ed4b147, v61, -v58
	v_add_f32_e32 v17, v55, v17
	v_mul_f32_e32 v55, 0xbf0a6770, v33
	v_add_f32_e32 v7, v19, v7
	v_dual_sub_f32 v19, v82, v37 :: v_dual_add_f32 v4, v56, v4
	s_delay_alu instid0(VALU_DEP_3) | instskip(SKIP_2) | instid1(VALU_DEP_4)
	v_dual_add_f32 v8, v58, v8 :: v_dual_fmamk_f32 v37, v61, 0x3f575c64, v55
	v_fma_f32 v55, 0x3f575c64, v61, -v55
	v_add_f32_e32 v56, v80, v81
	v_dual_mul_f32 v58, 0xbf4178ce, v19 :: v_dual_mul_f32 v33, 0xbf4178ce, v33
	s_delay_alu instid0(VALU_DEP_4) | instskip(NEXT) | instid1(VALU_DEP_4)
	v_add_f32_e32 v37, v37, v54
	v_add_f32_e32 v18, v55, v18
	s_delay_alu instid0(VALU_DEP_3) | instskip(SKIP_1) | instid1(VALU_DEP_2)
	v_fmamk_f32 v54, v56, 0xbf27a4f4, v58
	v_fma_f32 v55, 0xbf27a4f4, v56, -v58
	v_dual_mul_f32 v58, 0x3f7d64f0, v19 :: v_dual_add_f32 v1, v54, v1
	s_delay_alu instid0(VALU_DEP_2) | instskip(NEXT) | instid1(VALU_DEP_2)
	v_add_f32_e32 v6, v55, v6
	v_dual_fmamk_f32 v54, v56, 0xbe11bafb, v58 :: v_dual_add_f32 v53, v59, v53
	v_fmamk_f32 v59, v61, 0xbf27a4f4, v33
	v_fma_f32 v33, 0xbf27a4f4, v61, -v33
	v_fma_f32 v55, 0xbe11bafb, v56, -v58
	s_delay_alu instid0(VALU_DEP_4) | instskip(NEXT) | instid1(VALU_DEP_4)
	v_dual_mul_f32 v58, 0xbe903f40, v19 :: v_dual_add_f32 v17, v54, v17
	v_add_f32_e32 v53, v59, v53
	s_delay_alu instid0(VALU_DEP_4) | instskip(SKIP_1) | instid1(VALU_DEP_4)
	v_add_f32_e32 v5, v33, v5
	v_mul_f32_e32 v33, 0xbf0a6770, v19
	v_fmamk_f32 v54, v56, 0xbf75a155, v58
	v_dual_mul_f32 v19, 0x3f68dda4, v19 :: v_dual_add_f32 v4, v55, v4
	s_delay_alu instid0(VALU_DEP_3) | instskip(SKIP_1) | instid1(VALU_DEP_4)
	v_fmamk_f32 v59, v56, 0x3f575c64, v33
	v_fma_f32 v33, 0x3f575c64, v56, -v33
	v_add_f32_e32 v37, v54, v37
	s_delay_alu instid0(VALU_DEP_4) | instskip(SKIP_1) | instid1(VALU_DEP_4)
	v_dual_add_f32 v54, v2, v50 :: v_dual_fmamk_f32 v55, v56, 0x3ed4b147, v19
	v_fma_f32 v19, 0x3ed4b147, v56, -v19
	v_add_f32_e32 v8, v33, v8
	v_fma_f32 v33, 0xbf75a155, v56, -v58
	v_add_f32_e32 v7, v59, v7
	v_add_f32_e32 v53, v55, v53
	;; [unrolled: 1-line block ×3, first 2 shown]
	v_add_nc_u32_e32 v56, 0x1000, v25
	v_dual_add_f32 v18, v33, v18 :: v_dual_add_f32 v33, v51, v49
	v_mul_f32_e32 v49, 0xbe903f40, v39
	v_add_f32_e32 v51, v54, v47
	v_mul_f32_e32 v54, 0x3f0a6770, v39
	v_add_nc_u32_e32 v58, 0x200, v25
	v_add_nc_u32_e32 v59, 0xe00, v25
	v_fmamk_f32 v55, v33, 0xbf75a155, v49
	v_add_f32_e32 v51, v51, v44
	v_fmamk_f32 v19, v33, 0x3f575c64, v54
	v_fma_f32 v49, 0xbf75a155, v33, -v49
	s_delay_alu instid0(VALU_DEP_4) | instskip(NEXT) | instid1(VALU_DEP_4)
	v_add_f32_e32 v75, v55, v1
	v_add_f32_e32 v1, v51, v38
	s_delay_alu instid0(VALU_DEP_4) | instskip(SKIP_4) | instid1(VALU_DEP_4)
	v_add_f32_e32 v80, v19, v17
	v_fma_f32 v17, 0x3f575c64, v33, -v54
	v_mul_f32_e32 v19, 0x3f68dda4, v39
	v_add_f32_e32 v79, v49, v6
	v_add_f32_e32 v1, v1, v3
	v_dual_mul_f32 v6, 0xbf4178ce, v39 :: v_dual_add_f32 v81, v17, v4
	s_delay_alu instid0(VALU_DEP_4) | instskip(NEXT) | instid1(VALU_DEP_3)
	v_dual_fmamk_f32 v4, v33, 0x3ed4b147, v19 :: v_dual_add_f32 v17, v50, v78
	v_add_f32_e32 v1, v1, v35
	s_delay_alu instid0(VALU_DEP_3) | instskip(SKIP_1) | instid1(VALU_DEP_4)
	v_fmamk_f32 v49, v33, 0xbf27a4f4, v6
	v_fma_f32 v6, 0xbf27a4f4, v33, -v6
	v_add_f32_e32 v84, v4, v37
	s_delay_alu instid0(VALU_DEP_4) | instskip(NEXT) | instid1(VALU_DEP_3)
	v_dual_sub_f32 v4, v48, v32 :: v_dual_add_f32 v1, v1, v41
	v_dual_add_f32 v82, v49, v7 :: v_dual_add_f32 v83, v6, v8
	v_mul_f32_e32 v6, 0xbf7d64f0, v39
	v_fma_f32 v7, 0x3ed4b147, v33, -v19
	s_delay_alu instid0(VALU_DEP_4) | instskip(SKIP_1) | instid1(VALU_DEP_4)
	v_add_f32_e32 v1, v1, v43
	v_mul_f32_e32 v19, 0xbf0a6770, v4
	v_dual_add_f32 v3, v3, v35 :: v_dual_fmamk_f32 v8, v33, 0xbe11bafb, v6
	v_fma_f32 v6, 0xbe11bafb, v33, -v6
	v_add_f32_e32 v85, v7, v18
	v_add_f32_e32 v1, v1, v45
	v_fmamk_f32 v7, v17, 0x3f575c64, v19
	s_delay_alu instid0(VALU_DEP_4) | instskip(NEXT) | instid1(VALU_DEP_3)
	v_dual_mul_f32 v18, 0xbf4178ce, v4 :: v_dual_add_f32 v93, v6, v5
	v_dual_mul_f32 v5, 0xbf68dda4, v4 :: v_dual_add_f32 v78, v1, v78
	s_delay_alu instid0(VALU_DEP_3)
	v_add_f32_e32 v1, v2, v7
	v_mul_f32_e32 v7, 0xbf7d64f0, v4
	v_mul_f32_e32 v4, 0xbe903f40, v4
	v_add_f32_e32 v86, v8, v53
	v_fma_f32 v6, 0x3f575c64, v17, -v19
	v_fmamk_f32 v8, v17, 0x3ed4b147, v5
	v_fma_f32 v5, 0x3ed4b147, v17, -v5
	v_fmamk_f32 v19, v17, 0xbe11bafb, v7
	v_fma_f32 v7, 0xbe11bafb, v17, -v7
	v_fmamk_f32 v32, v17, 0xbf27a4f4, v18
	v_fma_f32 v18, 0xbf27a4f4, v17, -v18
	v_fmamk_f32 v33, v17, 0xbf75a155, v4
	v_add_f32_e32 v37, v47, v45
	v_mul_f32_e32 v39, 0xbf68dda4, v21
	v_fma_f32 v4, 0xbf75a155, v17, -v4
	v_add_f32_e32 v6, v2, v6
	v_add_f32_e32 v8, v2, v8
	;; [unrolled: 1-line block ×6, first 2 shown]
	v_dual_add_f32 v17, v2, v18 :: v_dual_add_nc_u32 v54, 0x400, v25
	v_add_f32_e32 v18, v2, v33
	v_mul_f32_e32 v33, 0xbf4178ce, v21
	v_dual_fmamk_f32 v45, v37, 0x3ed4b147, v39 :: v_dual_add_f32 v2, v2, v4
	v_fma_f32 v4, 0x3ed4b147, v37, -v39
	v_mul_f32_e32 v39, 0x3e903f40, v21
	s_delay_alu instid0(VALU_DEP_4) | instskip(SKIP_1) | instid1(VALU_DEP_4)
	v_fmamk_f32 v46, v37, 0xbf27a4f4, v33
	v_fma_f32 v33, 0xbf27a4f4, v37, -v33
	v_dual_add_f32 v1, v45, v1 :: v_dual_add_f32 v4, v4, v6
	s_delay_alu instid0(VALU_DEP_4) | instskip(SKIP_1) | instid1(VALU_DEP_4)
	v_fmamk_f32 v6, v37, 0xbf75a155, v39
	v_fma_f32 v39, 0xbf75a155, v37, -v39
	v_add_f32_e32 v5, v33, v5
	v_dual_mul_f32 v33, 0x3f7d64f0, v21 :: v_dual_add_f32 v8, v46, v8
	s_delay_alu instid0(VALU_DEP_4) | instskip(SKIP_1) | instid1(VALU_DEP_3)
	v_dual_add_f32 v6, v6, v19 :: v_dual_mul_f32 v19, 0x3f0a6770, v21
	v_sub_f32_e32 v21, v42, v22
	v_dual_add_f32 v7, v39, v7 :: v_dual_fmamk_f32 v22, v37, 0xbe11bafb, v33
	v_fma_f32 v33, 0xbe11bafb, v37, -v33
	s_delay_alu instid0(VALU_DEP_4) | instskip(NEXT) | instid1(VALU_DEP_4)
	v_dual_fmamk_f32 v39, v37, 0x3f575c64, v19 :: v_dual_add_f32 v42, v44, v43
	v_mul_f32_e32 v43, 0xbf7d64f0, v21
	v_fma_f32 v19, 0x3f575c64, v37, -v19
	s_delay_alu instid0(VALU_DEP_4) | instskip(SKIP_1) | instid1(VALU_DEP_4)
	v_dual_add_f32 v22, v22, v32 :: v_dual_add_f32 v17, v33, v17
	v_mul_f32_e32 v33, 0x3e903f40, v21
	v_fmamk_f32 v32, v42, 0xbe11bafb, v43
	s_delay_alu instid0(VALU_DEP_4) | instskip(SKIP_2) | instid1(VALU_DEP_4)
	v_add_f32_e32 v2, v19, v2
	v_fma_f32 v19, 0xbe11bafb, v42, -v43
	v_dual_mul_f32 v37, 0x3f68dda4, v21 :: v_dual_add_f32 v18, v39, v18
	v_dual_add_f32 v1, v32, v1 :: v_dual_fmamk_f32 v32, v42, 0xbf75a155, v33
	s_delay_alu instid0(VALU_DEP_2) | instskip(SKIP_2) | instid1(VALU_DEP_4)
	v_dual_add_f32 v4, v19, v4 :: v_dual_fmamk_f32 v19, v42, 0x3ed4b147, v37
	v_fma_f32 v33, 0xbf75a155, v42, -v33
	v_fma_f32 v37, 0x3ed4b147, v42, -v37
	v_add_f32_e32 v8, v32, v8
	v_mul_f32_e32 v32, 0xbf0a6770, v21
	v_dual_add_f32 v6, v19, v6 :: v_dual_sub_f32 v19, v40, v20
	v_mul_f32_e32 v20, 0xbf4178ce, v21
	v_add_f32_e32 v5, v33, v5
	v_add_f32_e32 v7, v37, v7
	v_fmamk_f32 v21, v42, 0x3f575c64, v32
	v_fma_f32 v32, 0x3f575c64, v42, -v32
	v_add_f32_e32 v33, v38, v41
	v_mul_f32_e32 v37, 0xbf4178ce, v19
	v_fmamk_f32 v38, v42, 0xbf27a4f4, v20
	v_fma_f32 v20, 0xbf27a4f4, v42, -v20
	v_add_f32_e32 v21, v21, v22
	s_delay_alu instid0(VALU_DEP_4)
	v_dual_add_f32 v17, v32, v17 :: v_dual_fmamk_f32 v22, v33, 0xbf27a4f4, v37
	v_mul_f32_e32 v32, 0x3f7d64f0, v19
	v_fma_f32 v37, 0xbf27a4f4, v33, -v37
	v_add_f32_e32 v2, v20, v2
	v_mul_f32_e32 v20, 0xbf0a6770, v19
	v_add_f32_e32 v18, v38, v18
	v_dual_add_f32 v1, v22, v1 :: v_dual_fmamk_f32 v22, v33, 0xbe11bafb, v32
	v_dual_add_f32 v4, v37, v4 :: v_dual_mul_f32 v37, 0xbe903f40, v19
	s_delay_alu instid0(VALU_DEP_4)
	v_fmamk_f32 v38, v33, 0x3f575c64, v20
	v_fma_f32 v20, 0x3f575c64, v33, -v20
	v_fma_f32 v32, 0xbe11bafb, v33, -v32
	v_add_f32_e32 v8, v22, v8
	v_fmamk_f32 v22, v33, 0xbf75a155, v37
	v_mul_f32_e32 v19, 0x3f68dda4, v19
	v_add_f32_e32 v7, v20, v7
	v_sub_f32_e32 v20, v36, v34
	v_add_f32_e32 v5, v32, v5
	v_add_f32_e32 v21, v22, v21
	v_fma_f32 v22, 0xbf75a155, v33, -v37
	v_fmamk_f32 v32, v33, 0x3ed4b147, v19
	v_mul_f32_e32 v34, 0xbe903f40, v20
	v_fma_f32 v19, 0x3ed4b147, v33, -v19
	v_mul_f32_e32 v33, 0xbf4178ce, v20
	s_delay_alu instid0(VALU_DEP_4)
	v_dual_add_f32 v17, v22, v17 :: v_dual_add_f32 v18, v32, v18
	v_mul_f32_e32 v22, 0x3f0a6770, v20
	v_fmamk_f32 v32, v3, 0xbf75a155, v34
	v_add_f32_e32 v2, v19, v2
	v_fma_f32 v19, 0xbf75a155, v3, -v34
	v_add_f32_e32 v6, v38, v6
	v_fmamk_f32 v34, v3, 0x3f575c64, v22
	v_add_f32_e32 v102, v32, v1
	v_fma_f32 v1, 0x3f575c64, v3, -v22
	v_add_f32_e32 v103, v19, v4
	v_fmamk_f32 v4, v3, 0xbf27a4f4, v33
	v_add_f32_e32 v104, v34, v8
	s_delay_alu instid0(VALU_DEP_4) | instskip(NEXT) | instid1(VALU_DEP_3)
	v_dual_mul_f32 v8, 0x3f68dda4, v20 :: v_dual_add_f32 v105, v1, v5
	v_dual_mul_f32 v1, 0xbf7d64f0, v20 :: v_dual_add_f32 v106, v4, v6
	v_fma_f32 v4, 0xbf27a4f4, v3, -v33
	s_delay_alu instid0(VALU_DEP_3) | instskip(SKIP_1) | instid1(VALU_DEP_4)
	v_fmamk_f32 v5, v3, 0x3ed4b147, v8
	v_fma_f32 v6, 0x3ed4b147, v3, -v8
	v_fmamk_f32 v8, v3, 0xbe11bafb, v1
	v_fma_f32 v1, 0xbe11bafb, v3, -v1
	v_add_nc_u32_e32 v53, 0xc00, v25
	v_add_nc_u32_e32 v55, 0x1800, v25
	v_add_f32_e32 v107, v4, v7
	v_dual_add_f32 v109, v6, v17 :: v_dual_add_f32 v110, v8, v18
	v_add_f32_e32 v111, v1, v2
	ds_load_2addr_b32 v[7:8], v25 offset1:55
	ds_load_2addr_b32 v[1:2], v54 offset0:74 offset1:129
	ds_load_2addr_b32 v[50:51], v53 offset0:2 offset1:57
	;; [unrolled: 1-line block ×9, first 2 shown]
	v_add_f32_e32 v108, v5, v21
	ds_load_2addr_b32 v[38:39], v62 offset0:38 offset1:93
	ds_load_2addr_b32 v[36:37], v64 offset0:40 offset1:95
	;; [unrolled: 1-line block ×7, first 2 shown]
	ds_load_b32 v61, v25 offset:7480
	s_waitcnt lgkmcnt(0)
	s_barrier
	buffer_gl0_inv
	ds_store_2addr_b32 v57, v68, v95 offset1:7
	ds_store_2addr_b32 v57, v96, v99 offset0:14 offset1:21
	ds_store_2addr_b32 v57, v101, v87 offset0:28 offset1:35
	ds_store_2addr_b32 v57, v94, v60 offset0:42 offset1:49
	ds_store_2addr_b32 v57, v98, v97 offset0:56 offset1:63
	ds_store_b32 v57, v69 offset:280
	ds_store_2addr_b32 v65, v100, v75 offset1:7
	ds_store_2addr_b32 v65, v80, v82 offset0:14 offset1:21
	ds_store_2addr_b32 v65, v84, v86 offset0:28 offset1:35
	ds_store_2addr_b32 v65, v93, v85 offset0:42 offset1:49
	ds_store_2addr_b32 v65, v83, v81 offset0:56 offset1:63
	ds_store_b32 v65, v79 offset:280
	;; [unrolled: 6-line block ×3, first 2 shown]
	s_and_saveexec_b32 s1, s0
	s_cbranch_execz .LBB0_19
; %bb.18:
	v_dual_sub_f32 v31, v31, v52 :: v_dual_add_f32 v60, v76, v73
	v_dual_add_f32 v57, v0, v77 :: v_dual_add_f32 v52, v77, v70
	s_delay_alu instid0(VALU_DEP_2) | instskip(SKIP_1) | instid1(VALU_DEP_3)
	v_dual_sub_f32 v13, v29, v13 :: v_dual_mul_f32 v68, 0xbf4178ce, v31
	v_sub_f32_e32 v12, v28, v12
	v_add_f32_e32 v29, v57, v76
	v_mul_u32_u24_e32 v11, 0x134, v11
	s_delay_alu instid0(VALU_DEP_4) | instskip(SKIP_4) | instid1(VALU_DEP_4)
	v_mul_f32_e32 v76, 0x3e903f40, v13
	v_fmamk_f32 v80, v52, 0xbf27a4f4, v68
	v_mul_f32_e32 v65, 0xbf68dda4, v31
	v_mul_f32_e32 v75, 0xbf4178ce, v13
	v_fma_f32 v68, 0xbf27a4f4, v52, -v68
	v_dual_mul_f32 v67, 0xbf7d64f0, v31 :: v_dual_add_f32 v80, v0, v80
	s_delay_alu instid0(VALU_DEP_4) | instskip(SKIP_1) | instid1(VALU_DEP_4)
	v_dual_add_f32 v29, v29, v74 :: v_dual_fmamk_f32 v78, v52, 0x3ed4b147, v65
	v_fma_f32 v65, 0x3ed4b147, v52, -v65
	v_dual_mul_f32 v57, 0xbf0a6770, v31 :: v_dual_add_f32 v68, v0, v68
	s_delay_alu instid0(VALU_DEP_3) | instskip(NEXT) | instid1(VALU_DEP_4)
	v_add_f32_e32 v29, v29, v66
	v_add_f32_e32 v78, v0, v78
	s_delay_alu instid0(VALU_DEP_4) | instskip(NEXT) | instid1(VALU_DEP_4)
	v_add_f32_e32 v65, v0, v65
	v_fmamk_f32 v77, v52, 0x3f575c64, v57
	s_delay_alu instid0(VALU_DEP_4)
	v_dual_fmamk_f32 v82, v60, 0xbf27a4f4, v75 :: v_dual_add_f32 v29, v29, v9
	v_mul_f32_e32 v31, 0xbe903f40, v31
	v_fma_f32 v57, 0x3f575c64, v52, -v57
	v_fmamk_f32 v79, v52, 0xbe11bafb, v67
	v_fma_f32 v67, 0xbe11bafb, v52, -v67
	v_dual_add_f32 v29, v29, v30 :: v_dual_sub_f32 v16, v23, v16
	s_delay_alu instid0(VALU_DEP_4) | instskip(NEXT) | instid1(VALU_DEP_4)
	v_add_f32_e32 v57, v0, v57
	v_add_f32_e32 v79, v0, v79
	s_delay_alu instid0(VALU_DEP_4) | instskip(NEXT) | instid1(VALU_DEP_4)
	v_add_f32_e32 v67, v0, v67
	v_add_f32_e32 v29, v29, v71
	;; [unrolled: 1-line block ×3, first 2 shown]
	v_add3_u32 v10, 0, v11, v10
	v_add_f32_e32 v66, v66, v71
	s_delay_alu instid0(VALU_DEP_4) | instskip(SKIP_2) | instid1(VALU_DEP_3)
	v_dual_sub_f32 v14, v14, v15 :: v_dual_add_f32 v29, v29, v72
	v_dual_add_f32 v72, v74, v72 :: v_dual_add_f32 v77, v0, v77
	v_mul_f32_e32 v74, 0xbf7d64f0, v12
	v_dual_mul_f32 v30, 0xbe903f40, v14 :: v_dual_add_f32 v29, v29, v73
	s_delay_alu instid0(VALU_DEP_1) | instskip(SKIP_3) | instid1(VALU_DEP_3)
	v_add_f32_e32 v29, v29, v70
	v_dual_add_f32 v70, v82, v78 :: v_dual_fmamk_f32 v81, v52, 0xbf75a155, v31
	v_fma_f32 v31, 0xbf75a155, v52, -v31
	v_mul_f32_e32 v69, 0xbf68dda4, v13
	v_add_f32_e32 v73, v0, v81
	s_delay_alu instid0(VALU_DEP_3) | instskip(NEXT) | instid1(VALU_DEP_3)
	v_add_f32_e32 v0, v0, v31
	v_fmamk_f32 v52, v60, 0x3ed4b147, v69
	v_fma_f32 v69, 0x3ed4b147, v60, -v69
	s_delay_alu instid0(VALU_DEP_2) | instskip(SKIP_2) | instid1(VALU_DEP_4)
	v_add_f32_e32 v31, v52, v77
	v_fma_f32 v52, 0xbf27a4f4, v60, -v75
	v_fma_f32 v75, 0xbf75a155, v60, -v76
	v_add_f32_e32 v57, v69, v57
	v_fmamk_f32 v69, v60, 0xbf75a155, v76
	s_delay_alu instid0(VALU_DEP_4) | instskip(SKIP_2) | instid1(VALU_DEP_2)
	v_add_f32_e32 v52, v52, v65
	v_mul_f32_e32 v65, 0x3f7d64f0, v13
	v_mul_f32_e32 v13, 0x3f0a6770, v13
	v_dual_add_f32 v67, v75, v67 :: v_dual_fmamk_f32 v28, v60, 0xbe11bafb, v65
	v_fma_f32 v65, 0xbe11bafb, v60, -v65
	s_delay_alu instid0(VALU_DEP_3) | instskip(SKIP_1) | instid1(VALU_DEP_4)
	v_fmamk_f32 v75, v60, 0x3f575c64, v13
	v_fma_f32 v13, 0x3f575c64, v60, -v13
	v_add_f32_e32 v28, v28, v80
	s_delay_alu instid0(VALU_DEP_4) | instskip(SKIP_1) | instid1(VALU_DEP_4)
	v_add_f32_e32 v60, v65, v68
	v_fmamk_f32 v68, v72, 0xbe11bafb, v74
	v_dual_add_f32 v0, v13, v0 :: v_dual_add_f32 v65, v75, v73
	v_fma_f32 v13, 0xbe11bafb, v72, -v74
	s_delay_alu instid0(VALU_DEP_3) | instskip(SKIP_1) | instid1(VALU_DEP_1)
	v_dual_mul_f32 v74, 0x3f68dda4, v12 :: v_dual_add_f32 v31, v68, v31
	v_mul_f32_e32 v73, 0x3e903f40, v12
	v_dual_fmamk_f32 v68, v72, 0xbf75a155, v73 :: v_dual_add_f32 v13, v13, v57
	s_delay_alu instid0(VALU_DEP_1) | instskip(SKIP_2) | instid1(VALU_DEP_2)
	v_add_f32_e32 v68, v68, v70
	v_mul_f32_e32 v70, 0xbf0a6770, v12
	v_dual_mul_f32 v12, 0xbf4178ce, v12 :: v_dual_add_f32 v69, v69, v79
	v_fmamk_f32 v23, v72, 0x3f575c64, v70
	s_delay_alu instid0(VALU_DEP_2) | instskip(SKIP_1) | instid1(VALU_DEP_3)
	v_fmamk_f32 v71, v72, 0xbf27a4f4, v12
	v_fma_f32 v12, 0xbf27a4f4, v72, -v12
	v_add_f32_e32 v23, v23, v28
	s_delay_alu instid0(VALU_DEP_2) | instskip(SKIP_2) | instid1(VALU_DEP_2)
	v_dual_add_f32 v0, v12, v0 :: v_dual_add_f32 v65, v71, v65
	v_fmamk_f32 v57, v72, 0x3ed4b147, v74
	v_fma_f32 v74, 0x3ed4b147, v72, -v74
	v_add_f32_e32 v57, v57, v69
	v_fma_f32 v69, 0x3f575c64, v72, -v70
	v_mul_f32_e32 v70, 0xbf4178ce, v16
	s_delay_alu instid0(VALU_DEP_2) | instskip(NEXT) | instid1(VALU_DEP_2)
	v_add_f32_e32 v28, v69, v60
	v_fmamk_f32 v60, v66, 0xbf27a4f4, v70
	v_mul_f32_e32 v69, 0x3f7d64f0, v16
	v_fma_f32 v70, 0xbf27a4f4, v66, -v70
	v_add_f32_e32 v67, v74, v67
	s_delay_alu instid0(VALU_DEP_4) | instskip(SKIP_4) | instid1(VALU_DEP_4)
	v_add_f32_e32 v12, v60, v31
	v_fma_f32 v73, 0xbf75a155, v72, -v73
	v_mul_f32_e32 v31, 0xbf0a6770, v16
	v_fmamk_f32 v60, v66, 0xbe11bafb, v69
	v_dual_add_f32 v13, v70, v13 :: v_dual_mul_f32 v70, 0xbe903f40, v16
	v_add_f32_e32 v52, v73, v52
	v_fma_f32 v69, 0xbe11bafb, v66, -v69
	s_delay_alu instid0(VALU_DEP_4) | instskip(SKIP_3) | instid1(VALU_DEP_3)
	v_dual_fmamk_f32 v71, v66, 0x3f575c64, v31 :: v_dual_add_f32 v60, v60, v68
	v_fma_f32 v31, 0x3f575c64, v66, -v31
	v_fmamk_f32 v68, v66, 0xbf75a155, v70
	v_mul_f32_e32 v16, 0x3f68dda4, v16
	v_dual_add_f32 v52, v69, v52 :: v_dual_add_f32 v31, v31, v67
	s_delay_alu instid0(VALU_DEP_3) | instskip(SKIP_1) | instid1(VALU_DEP_4)
	v_add_f32_e32 v15, v68, v23
	v_fma_f32 v23, 0xbf75a155, v66, -v70
	v_fmamk_f32 v67, v66, 0x3ed4b147, v16
	v_fma_f32 v16, 0x3ed4b147, v66, -v16
	v_fmamk_f32 v66, v9, 0xbf75a155, v30
	v_fma_f32 v30, 0xbf75a155, v9, -v30
	v_add_f32_e32 v23, v23, v28
	v_add_f32_e32 v28, v67, v65
	v_dual_add_f32 v0, v16, v0 :: v_dual_mul_f32 v65, 0x3f0a6770, v14
	v_dual_add_f32 v57, v71, v57 :: v_dual_mul_f32 v16, 0xbf4178ce, v14
	v_add_f32_e32 v12, v66, v12
	v_add_f32_e32 v13, v30, v13
	s_delay_alu instid0(VALU_DEP_4) | instskip(SKIP_3) | instid1(VALU_DEP_4)
	v_fmamk_f32 v67, v9, 0x3f575c64, v65
	v_fma_f32 v65, 0x3f575c64, v9, -v65
	v_fmamk_f32 v66, v9, 0xbf27a4f4, v16
	v_fma_f32 v16, 0xbf27a4f4, v9, -v16
	v_add_f32_e32 v30, v67, v60
	v_mul_f32_e32 v60, 0x3f68dda4, v14
	v_mul_f32_e32 v14, 0xbf7d64f0, v14
	v_dual_add_f32 v52, v65, v52 :: v_dual_add_f32 v57, v66, v57
	s_delay_alu instid0(VALU_DEP_3) | instskip(NEXT) | instid1(VALU_DEP_3)
	v_fmamk_f32 v65, v9, 0x3ed4b147, v60
	v_fmamk_f32 v66, v9, 0xbe11bafb, v14
	v_fma_f32 v60, 0x3ed4b147, v9, -v60
	v_fma_f32 v9, 0xbe11bafb, v9, -v14
	s_delay_alu instid0(VALU_DEP_3) | instskip(NEXT) | instid1(VALU_DEP_2)
	v_dual_add_f32 v14, v65, v15 :: v_dual_add_f32 v15, v66, v28
	v_dual_add_f32 v11, v60, v23 :: v_dual_add_f32 v0, v9, v0
	v_add_f32_e32 v9, v16, v31
	ds_store_2addr_b32 v10, v29, v12 offset1:7
	ds_store_2addr_b32 v10, v30, v57 offset0:14 offset1:21
	ds_store_2addr_b32 v10, v14, v15 offset0:28 offset1:35
	;; [unrolled: 1-line block ×4, first 2 shown]
	ds_store_b32 v10, v13 offset:280
.LBB0_19:
	s_or_b32 exec_lo, exec_lo, s1
	v_subrev_nc_u32_e32 v0, 22, v24
	v_cmp_gt_u32_e64 s0, 22, v24
	v_dual_mov_b32 v29, 0 :: v_dual_lshlrev_b32 v28, 2, v24
	s_waitcnt lgkmcnt(0)
	s_barrier
	s_delay_alu instid0(VALU_DEP_2)
	v_cndmask_b32_e64 v0, v0, v88, s0
	buffer_gl0_inv
	v_lshlrev_b64 v[9:10], 3, v[28:29]
	v_add_nc_u32_e32 v68, 0x14a, v24
	v_lshlrev_b32_e32 v28, 2, v0
	v_mul_lo_u16 v0, 0xd5, v91
	s_delay_alu instid0(VALU_DEP_4) | instskip(NEXT) | instid1(VALU_DEP_1)
	v_add_co_u32 v30, s0, s4, v9
	v_add_co_ci_u32_e64 v31, s0, s5, v10, s0
	s_delay_alu instid0(VALU_DEP_4) | instskip(NEXT) | instid1(VALU_DEP_4)
	v_lshlrev_b64 v[9:10], 3, v[28:29]
	v_lshrrev_b16 v23, 14, v0
	v_mul_lo_u16 v0, 0xd5, v92
	s_clause 0x1
	global_load_b128 v[71:74], v[30:31], off offset:560
	global_load_b128 v[75:78], v[30:31], off offset:576
	v_and_b32_e32 v11, 0xffff, v68
	v_add_co_u32 v9, s0, s4, v9
	s_delay_alu instid0(VALU_DEP_1)
	v_add_co_ci_u32_e64 v10, s0, s5, v10, s0
	v_lshrrev_b16 v0, 14, v0
	v_cmp_lt_u32_e64 s0, 21, v24
	s_clause 0x1
	global_load_b128 v[79:82], v[9:10], off offset:560
	global_load_b128 v[83:86], v[9:10], off offset:576
	v_mul_lo_u16 v9, 0x4d, v23
	v_mul_lo_u16 v0, 0x4d, v0
	v_and_b32_e32 v23, 0xffff, v23
	s_delay_alu instid0(VALU_DEP_3) | instskip(NEXT) | instid1(VALU_DEP_3)
	v_sub_nc_u16 v9, v89, v9
	v_sub_nc_u16 v0, v90, v0
	s_delay_alu instid0(VALU_DEP_3) | instskip(NEXT) | instid1(VALU_DEP_3)
	v_mul_u32_u24_e32 v23, 0x604, v23
	v_and_b32_e32 v66, 0xff, v9
	s_delay_alu instid0(VALU_DEP_3) | instskip(NEXT) | instid1(VALU_DEP_2)
	v_and_b32_e32 v52, 0xff, v0
	v_lshlrev_b32_e32 v9, 5, v66
	s_delay_alu instid0(VALU_DEP_2)
	v_lshlrev_b32_e32 v0, 5, v52
	global_load_b128 v[91:94], v9, s[4:5] offset:560
	v_add_nc_u32_e32 v69, 0xdc, v24
	s_clause 0x2
	global_load_b128 v[95:98], v9, s[4:5] offset:576
	global_load_b128 v[99:102], v0, s[4:5] offset:560
	;; [unrolled: 1-line block ×3, first 2 shown]
	v_add_nc_u32_e32 v0, 0x113, v24
	v_and_b32_e32 v9, 0xffff, v69
	s_delay_alu instid0(VALU_DEP_2) | instskip(NEXT) | instid1(VALU_DEP_2)
	v_and_b32_e32 v10, 0xffff, v0
	v_mul_u32_u24_e32 v9, 0x1a99, v9
	s_delay_alu instid0(VALU_DEP_1) | instskip(NEXT) | instid1(VALU_DEP_3)
	v_lshrrev_b32_e32 v57, 19, v9
	v_mul_u32_u24_e32 v9, 0x1a99, v10
	s_delay_alu instid0(VALU_DEP_2) | instskip(NEXT) | instid1(VALU_DEP_2)
	v_mul_lo_u16 v10, 0x4d, v57
	v_lshrrev_b32_e32 v60, 19, v9
	s_delay_alu instid0(VALU_DEP_2) | instskip(SKIP_1) | instid1(VALU_DEP_3)
	v_sub_nc_u16 v9, v69, v10
	v_mul_u32_u24_e32 v10, 0x1a99, v11
	v_mul_lo_u16 v11, 0x4d, v60
	s_delay_alu instid0(VALU_DEP_3) | instskip(NEXT) | instid1(VALU_DEP_3)
	v_and_b32_e32 v67, 0xffff, v9
	v_lshrrev_b32_e32 v9, 19, v10
	s_delay_alu instid0(VALU_DEP_3) | instskip(NEXT) | instid1(VALU_DEP_3)
	v_sub_nc_u16 v10, v0, v11
	v_lshlrev_b32_e32 v11, 5, v67
	s_delay_alu instid0(VALU_DEP_3) | instskip(NEXT) | instid1(VALU_DEP_3)
	v_mul_lo_u16 v9, 0x4d, v9
	v_and_b32_e32 v87, 0xffff, v10
	global_load_b128 v[111:114], v11, s[4:5] offset:576
	v_sub_nc_u16 v9, v68, v9
	v_lshlrev_b32_e32 v10, 5, v87
	global_load_b128 v[107:110], v11, s[4:5] offset:560
	v_and_b32_e32 v65, 0xffff, v9
	global_load_b128 v[115:118], v10, s[4:5] offset:560
	v_lshlrev_b32_e32 v9, 5, v65
	s_clause 0x2
	global_load_b128 v[119:122], v10, s[4:5] offset:576
	global_load_b128 v[123:126], v9, s[4:5] offset:560
	global_load_b128 v[127:130], v9, s[4:5] offset:576
	ds_load_2addr_b32 v[11:12], v25 offset1:55
	ds_load_2addr_b32 v[9:10], v54 offset0:74 offset1:129
	ds_load_2addr_b32 v[131:132], v53 offset0:2 offset1:57
	;; [unrolled: 1-line block ×16, first 2 shown]
	ds_load_b32 v157, v25 offset:7480
	v_lshlrev_b32_e32 v70, 2, v66
	s_waitcnt vmcnt(0) lgkmcnt(0)
	s_barrier
	buffer_gl0_inv
	v_mul_f32_e32 v158, v131, v74
	v_mul_f32_e32 v74, v50, v74
	;; [unrolled: 1-line block ×3, first 2 shown]
	v_dual_mul_f32 v76, v18, v76 :: v_dual_lshlrev_b32 v67, 2, v67
	v_mul_f32_e32 v160, v135, v78
	s_delay_alu instid0(VALU_DEP_4) | instskip(SKIP_1) | instid1(VALU_DEP_4)
	v_fmac_f32_e32 v74, v131, v73
	v_mul_f32_e32 v78, v48, v78
	v_fmac_f32_e32 v76, v134, v75
	v_dual_mul_f32 v87, v10, v72 :: v_dual_lshlrev_b32 v66, 2, v87
	v_mul_f32_e32 v72, v2, v72
	s_delay_alu instid0(VALU_DEP_3) | instskip(NEXT) | instid1(VALU_DEP_3)
	v_add_f32_e32 v163, v74, v76
	v_fma_f32 v2, v2, v71, -v87
	s_delay_alu instid0(VALU_DEP_3)
	v_fmac_f32_e32 v72, v10, v71
	v_fma_f32 v10, v50, v73, -v158
	v_fma_f32 v50, v18, v75, -v159
	;; [unrolled: 1-line block ×3, first 2 shown]
	v_fmac_f32_e32 v78, v135, v77
	v_dual_mul_f32 v18, v137, v80 :: v_dual_mul_f32 v73, v132, v82
	v_mul_f32_e32 v77, v139, v84
	s_delay_alu instid0(VALU_DEP_4) | instskip(NEXT) | instid1(VALU_DEP_4)
	v_sub_f32_e32 v161, v50, v71
	v_dual_mul_f32 v48, v46, v80 :: v_dual_add_f32 v167, v72, v78
	v_dual_mul_f32 v80, v44, v84 :: v_dual_sub_f32 v165, v10, v50
	v_dual_mul_f32 v84, v49, v86 :: v_dual_add_f32 v159, v2, v71
	v_mul_f32_e32 v75, v51, v82
	v_mul_f32_e32 v171, v140, v96
	v_dual_mul_f32 v82, v136, v86 :: v_dual_mul_f32 v169, v138, v92
	v_add_f32_e32 v86, v7, v2
	v_sub_f32_e32 v135, v2, v10
	v_sub_f32_e32 v160, v10, v2
	v_fma_f32 v51, v51, v81, -v73
	v_mul_f32_e32 v73, v145, v100
	v_fma_f32 v46, v46, v79, -v18
	v_mul_f32_e32 v100, v38, v100
	v_fmac_f32_e32 v84, v136, v85
	v_fma_f32 v77, v44, v83, -v77
	v_fmac_f32_e32 v80, v139, v83
	v_fma_f32 v44, -0.5, v159, v7
	v_add_f32_e32 v87, v10, v50
	v_fma_f32 v49, v49, v85, -v82
	v_mul_f32_e32 v172, v143, v98
	v_dual_sub_f32 v131, v72, v78 :: v_dual_sub_f32 v134, v74, v76
	v_dual_fmac_f32 v75, v132, v81 :: v_dual_add_f32 v162, v11, v72
	v_mul_f32_e32 v81, v142, v102
	v_mul_f32_e32 v98, v40, v98
	;; [unrolled: 1-line block ×3, first 2 shown]
	v_fma_f32 v18, -0.5, v87, v7
	v_fma_f32 v7, -0.5, v167, v11
	v_sub_f32_e32 v164, v2, v71
	v_sub_f32_e32 v2, v72, v74
	v_sub_f32_e32 v166, v78, v76
	v_sub_f32_e32 v72, v74, v72
	v_dual_mul_f32 v92, v47, v92 :: v_dual_sub_f32 v139, v46, v49
	v_add_f32_e32 v10, v86, v10
	v_fma_f32 v81, v43, v101, -v81
	v_mul_f32_e32 v96, v45, v96
	v_add_f32_e32 v74, v162, v74
	v_add3_u32 v23, 0, v23, v70
	v_dual_mul_f32 v159, v148, v112 :: v_dual_fmac_f32 v48, v137, v79
	v_mul_f32_e32 v79, v147, v104
	v_dual_sub_f32 v158, v71, v50 :: v_dual_add_f32 v83, v160, v161
	v_dual_sub_f32 v168, v76, v78 :: v_dual_mul_f32 v161, v153, v116
	s_delay_alu instid0(VALU_DEP_2)
	v_add_f32_e32 v82, v135, v158
	v_dual_sub_f32 v135, v51, v46 :: v_dual_fmac_f32 v100, v145, v99
	v_dual_sub_f32 v145, v80, v84 :: v_dual_mul_f32 v170, v141, v94
	v_dual_mul_f32 v94, v42, v94 :: v_dual_add_f32 v137, v12, v48
	v_mul_f32_e32 v102, v43, v102
	v_mul_f32_e32 v106, v41, v106
	s_delay_alu instid0(VALU_DEP_4) | instskip(NEXT) | instid1(VALU_DEP_4)
	v_fma_f32 v87, v42, v93, -v170
	v_fmac_f32_e32 v94, v141, v93
	v_fma_f32 v93, v40, v97, -v172
	v_mul_f32_e32 v104, v36, v104
	v_sub_f32_e32 v141, v48, v75
	v_fma_f32 v79, v36, v103, -v79
	v_dual_mul_f32 v43, v20, v128 :: v_dual_mul_f32 v42, v17, v126
	s_delay_alu instid0(VALU_DEP_4)
	v_dual_fmac_f32 v104, v147, v103 :: v_dual_mul_f32 v147, v146, v108
	v_fmac_f32_e32 v98, v143, v97
	v_fmac_f32_e32 v102, v142, v101
	v_fma_f32 v97, v41, v105, -v132
	v_sub_f32_e32 v101, v75, v80
	v_add_f32_e32 v143, v48, v84
	v_fmac_f32_e32 v106, v144, v105
	v_dual_sub_f32 v105, v49, v77 :: v_dual_add_f32 v86, v72, v168
	v_fma_f32 v72, v47, v91, -v169
	v_fmac_f32_e32 v92, v138, v91
	v_fma_f32 v91, v45, v95, -v171
	v_sub_f32_e32 v103, v46, v51
	v_mul_f32_e32 v45, v21, v116
	v_dual_sub_f32 v167, v72, v87 :: v_dual_mul_f32 v116, v150, v118
	s_delay_alu instid0(VALU_DEP_4)
	v_sub_f32_e32 v168, v93, v91
	v_mul_f32_e32 v158, v149, v110
	v_dual_mul_f32 v110, v34, v110 :: v_dual_sub_f32 v171, v87, v91
	v_mul_f32_e32 v108, v39, v108
	v_fma_f32 v147, v39, v107, -v147
	v_dual_mul_f32 v47, v19, v120 :: v_dual_add_f32 v132, v46, v49
	v_mul_f32_e32 v41, v22, v124
	s_delay_alu instid0(VALU_DEP_4)
	v_dual_fmac_f32 v108, v146, v107 :: v_dual_add_f32 v107, v72, v93
	v_fmac_f32_e32 v96, v140, v95
	v_fma_f32 v95, v38, v99, -v73
	v_add_f32_e32 v73, v74, v76
	v_add_f32_e32 v85, v2, v166
	v_fma_f32 v2, -0.5, v163, v11
	v_fmamk_f32 v11, v165, 0x3f737871, v7
	v_sub_f32_e32 v99, v48, v84
	v_mul_f32_e32 v112, v37, v112
	v_mul_f32_e32 v160, v151, v114
	;; [unrolled: 1-line block ×3, first 2 shown]
	v_dual_sub_f32 v163, v92, v98 :: v_dual_fmac_f32 v110, v149, v109
	v_dual_add_f32 v149, v15, v92 :: v_dual_add_f32 v74, v8, v46
	v_dual_fmac_f32 v45, v153, v115 :: v_dual_sub_f32 v140, v51, v77
	v_mul_f32_e32 v40, v61, v130
	v_sub_f32_e32 v166, v94, v96
	v_dual_add_f32 v169, v94, v96 :: v_dual_sub_f32 v170, v72, v93
	v_fmac_f32_e32 v11, 0xbf167918, v164
	v_sub_f32_e32 v144, v75, v48
	v_mul_f32_e32 v48, v33, v122
	v_fma_f32 v37, v37, v111, -v159
	v_fmac_f32_e32 v112, v148, v111
	v_fma_f32 v111, v32, v113, -v160
	v_fmac_f32_e32 v114, v151, v113
	v_fma_f32 v113, v35, v117, -v116
	v_fma_f32 v116, v21, v115, -v161
	v_add_f32_e32 v21, v149, v94
	v_mul_f32_e32 v46, v35, v118
	v_mul_f32_e32 v118, v155, v120
	;; [unrolled: 1-line block ×3, first 2 shown]
	v_fma_f32 v35, -0.5, v107, v3
	v_mul_f32_e32 v122, v154, v124
	v_mul_f32_e32 v124, v133, v126
	;; [unrolled: 1-line block ×4, first 2 shown]
	v_add_f32_e32 v130, v3, v72
	v_add_f32_e32 v162, v87, v91
	v_sub_f32_e32 v146, v87, v72
	v_fma_f32 v115, v33, v121, -v120
	v_fma_f32 v120, v20, v127, -v126
	v_dual_add_f32 v20, v130, v87 :: v_dual_add_f32 v87, v167, v168
	v_fma_f32 v158, v34, v109, -v158
	v_dual_sub_f32 v109, v91, v93 :: v_dual_fmamk_f32 v36, v134, 0xbf737871, v44
	v_fmac_f32_e32 v44, 0x3f737871, v134
	v_dual_sub_f32 v136, v77, v49 :: v_dual_fmac_f32 v41, v154, v123
	s_delay_alu instid0(VALU_DEP_3)
	v_dual_sub_f32 v142, v84, v80 :: v_dual_add_f32 v107, v146, v109
	v_add_f32_e32 v76, v51, v77
	v_fmamk_f32 v38, v131, 0x3f737871, v18
	v_dual_fmac_f32 v18, 0xbf737871, v131 :: v_dual_add_f32 v103, v103, v105
	v_add_f32_e32 v51, v74, v51
	v_fmac_f32_e32 v44, 0xbf167918, v131
	v_fma_f32 v39, -0.5, v76, v8
	v_dual_fmac_f32 v47, v155, v119 :: v_dual_fmac_f32 v8, -0.5, v132
	v_dual_add_f32 v132, v135, v136 :: v_dual_sub_f32 v135, v97, v79
	v_dual_fmac_f32 v36, 0x3f167918, v131 :: v_dual_add_f32 v131, v92, v98
	v_dual_fmac_f32 v7, 0xbf737871, v165 :: v_dual_add_f32 v50, v10, v50
	v_dual_add_f32 v138, v75, v80 :: v_dual_fmac_f32 v43, v156, v127
	s_delay_alu instid0(VALU_DEP_3)
	v_fmac_f32_e32 v36, 0x3e9e377a, v83
	v_dual_fmac_f32 v44, 0x3e9e377a, v83 :: v_dual_add_f32 v51, v51, v77
	v_fmamk_f32 v77, v99, 0x3f737871, v39
	v_add_f32_e32 v83, v21, v96
	v_fma_f32 v33, -0.5, v162, v3
	v_fma_f32 v3, -0.5, v169, v15
	;; [unrolled: 1-line block ×3, first 2 shown]
	v_fmac_f32_e32 v7, 0x3f167918, v164
	v_add_f32_e32 v75, v137, v75
	v_fma_f32 v72, -0.5, v138, v12
	v_fmac_f32_e32 v77, 0x3f167918, v101
	v_dual_fmamk_f32 v21, v171, 0x3f737871, v15 :: v_dual_add_f32 v34, v50, v71
	v_sub_f32_e32 v50, v92, v94
	s_delay_alu instid0(VALU_DEP_3)
	v_dual_sub_f32 v92, v94, v92 :: v_dual_fmac_f32 v77, 0x3e9e377a, v103
	v_dual_add_f32 v71, v73, v78 :: v_dual_fmamk_f32 v10, v164, 0xbf737871, v2
	v_sub_f32_e32 v105, v102, v104
	v_dual_fmac_f32 v2, 0x3f737871, v164 :: v_dual_sub_f32 v73, v96, v98
	v_dual_fmac_f32 v46, v150, v117 :: v_dual_fmac_f32 v15, 0xbf737871, v171
	v_fmac_f32_e32 v38, 0x3f167918, v134
	v_fmac_f32_e32 v18, 0xbf167918, v134
	s_delay_alu instid0(VALU_DEP_4)
	v_add_f32_e32 v92, v92, v73
	v_dual_fmac_f32 v12, -0.5, v143 :: v_dual_add_f32 v73, v75, v80
	v_add_f32_e32 v75, v20, v91
	v_fma_f32 v117, v19, v119, -v118
	v_fma_f32 v119, v17, v125, -v124
	v_fmamk_f32 v17, v139, 0xbf737871, v72
	v_add_f32_e32 v137, v141, v142
	v_fmamk_f32 v19, v140, 0x3f737871, v12
	v_fmac_f32_e32 v10, 0xbf167918, v165
	v_fmac_f32_e32 v2, 0x3f167918, v165
	v_dual_fmac_f32 v17, 0xbf167918, v140 :: v_dual_add_f32 v78, v4, v95
	v_fmac_f32_e32 v38, 0x3e9e377a, v82
	v_fmac_f32_e32 v18, 0x3e9e377a, v82
	v_fmac_f32_e32 v19, 0xbf167918, v139
	v_fmamk_f32 v82, v166, 0xbf737871, v35
	v_fmac_f32_e32 v35, 0x3f737871, v166
	v_fma_f32 v118, v22, v123, -v122
	v_fmac_f32_e32 v17, 0x3e9e377a, v137
	v_add_f32_e32 v22, v78, v81
	v_dual_fmac_f32 v2, 0x3e9e377a, v85 :: v_dual_fmac_f32 v11, 0x3e9e377a, v86
	v_dual_add_f32 v138, v144, v145 :: v_dual_sub_f32 v91, v106, v104
	v_dual_add_f32 v164, v81, v79 :: v_dual_add_f32 v49, v51, v49
	v_add_f32_e32 v51, v75, v93
	s_delay_alu instid0(VALU_DEP_3)
	v_fmac_f32_e32 v19, 0x3e9e377a, v138
	v_dual_fmac_f32 v35, 0xbf167918, v163 :: v_dual_sub_f32 v76, v95, v81
	v_sub_f32_e32 v94, v147, v158
	v_dual_fmac_f32 v10, 0x3e9e377a, v85 :: v_dual_add_f32 v85, v22, v79
	v_dual_add_f32 v22, v73, v84 :: v_dual_add_f32 v73, v83, v98
	v_dual_sub_f32 v83, v81, v95 :: v_dual_sub_f32 v84, v79, v97
	v_sub_f32_e32 v79, v81, v79
	v_sub_f32_e32 v81, v100, v102
	v_dual_sub_f32 v93, v108, v114 :: v_dual_fmamk_f32 v80, v163, 0x3f737871, v33
	v_fmac_f32_e32 v33, 0xbf737871, v163
	v_dual_fmac_f32 v39, 0xbf737871, v99 :: v_dual_sub_f32 v134, v98, v96
	v_fmac_f32_e32 v15, 0x3f167918, v170
	s_delay_alu instid0(VALU_DEP_4) | instskip(NEXT) | instid1(VALU_DEP_4)
	v_fmac_f32_e32 v80, 0x3f167918, v166
	v_fmac_f32_e32 v33, 0xbf167918, v166
	v_fma_f32 v32, -0.5, v164, v4
	v_fmamk_f32 v20, v170, 0xbf737871, v3
	v_fmac_f32_e32 v3, 0x3f737871, v170
	v_dual_fmac_f32 v39, 0xbf167918, v101 :: v_dual_sub_f32 v74, v100, v106
	v_dual_fmac_f32 v21, 0xbf167918, v170 :: v_dual_add_f32 v136, v95, v97
	v_fmac_f32_e32 v80, 0x3e9e377a, v87
	v_fmac_f32_e32 v33, 0x3e9e377a, v87
	v_add_f32_e32 v75, v85, v97
	v_add_f32_e32 v85, v16, v100
	;; [unrolled: 1-line block ×3, first 2 shown]
	v_fmac_f32_e32 v7, 0x3e9e377a, v86
	v_fmac_f32_e32 v20, 0xbf167918, v171
	;; [unrolled: 1-line block ×4, first 2 shown]
	v_fmamk_f32 v86, v74, 0x3f737871, v32
	v_fmac_f32_e32 v21, 0x3e9e377a, v92
	v_fmac_f32_e32 v4, -0.5, v136
	v_dual_fmac_f32 v32, 0xbf737871, v74 :: v_dual_add_f32 v83, v83, v84
	v_add_f32_e32 v84, v85, v102
	v_fma_f32 v85, -0.5, v87, v16
	v_dual_sub_f32 v87, v95, v97 :: v_dual_add_f32 v50, v50, v134
	v_fmac_f32_e32 v86, 0x3f167918, v105
	v_fmac_f32_e32 v35, 0x3e9e377a, v107
	;; [unrolled: 1-line block ×5, first 2 shown]
	v_dual_fmac_f32 v3, 0x3e9e377a, v50 :: v_dual_add_f32 v50, v76, v135
	v_fmamk_f32 v76, v105, 0xbf737871, v4
	v_fmac_f32_e32 v4, 0x3f737871, v105
	v_fma_f32 v61, v61, v129, -v128
	v_add_f32_e32 v96, v147, v111
	v_fmac_f32_e32 v86, 0x3e9e377a, v50
	v_fmac_f32_e32 v76, 0x3f167918, v74
	;; [unrolled: 1-line block ×4, first 2 shown]
	v_add_f32_e32 v50, v84, v104
	v_add_f32_e32 v84, v100, v106
	v_fmac_f32_e32 v48, v152, v121
	v_fmac_f32_e32 v76, 0x3e9e377a, v83
	v_fmamk_f32 v74, v87, 0xbf737871, v85
	v_fmac_f32_e32 v4, 0x3e9e377a, v83
	v_dual_fmac_f32 v16, -0.5, v84 :: v_dual_add_f32 v83, v50, v106
	v_add_f32_e32 v50, v81, v91
	v_dual_fmac_f32 v85, 0x3f737871, v87 :: v_dual_sub_f32 v84, v102, v100
	v_dual_sub_f32 v91, v104, v106 :: v_dual_fmac_f32 v40, v157, v129
	v_dual_fmac_f32 v74, 0xbf167918, v79 :: v_dual_sub_f32 v105, v45, v46
	v_fmamk_f32 v81, v79, 0x3f737871, v16
	s_delay_alu instid0(VALU_DEP_4) | instskip(NEXT) | instid1(VALU_DEP_4)
	v_fmac_f32_e32 v85, 0x3f167918, v79
	v_add_f32_e32 v84, v84, v91
	v_add_f32_e32 v91, v5, v147
	v_dual_fmac_f32 v15, 0x3e9e377a, v92 :: v_dual_add_f32 v92, v158, v37
	v_fmac_f32_e32 v16, 0xbf737871, v79
	v_fmac_f32_e32 v74, 0x3e9e377a, v50
	;; [unrolled: 1-line block ×4, first 2 shown]
	v_fma_f32 v92, -0.5, v92, v5
	v_dual_add_f32 v50, v91, v158 :: v_dual_sub_f32 v91, v110, v112
	v_dual_sub_f32 v95, v111, v37 :: v_dual_fmac_f32 v16, 0x3f167918, v87
	v_fma_f32 v5, -0.5, v96, v5
	v_dual_fmamk_f32 v78, v101, 0xbf737871, v8 :: v_dual_add_f32 v97, v110, v112
	v_fmac_f32_e32 v8, 0x3f737871, v101
	v_fmac_f32_e32 v81, 0x3e9e377a, v84
	v_fmamk_f32 v79, v93, 0x3f737871, v92
	v_add_f32_e32 v87, v94, v95
	v_dual_sub_f32 v95, v37, v111 :: v_dual_fmac_f32 v16, 0x3e9e377a, v84
	v_fmac_f32_e32 v92, 0xbf737871, v93
	v_fmamk_f32 v84, v91, 0xbf737871, v5
	v_sub_f32_e32 v94, v158, v147
	v_add_f32_e32 v96, v13, v108
	v_fmac_f32_e32 v72, 0x3f737871, v139
	v_fmac_f32_e32 v5, 0x3f737871, v91
	v_fmac_f32_e32 v8, 0xbf167918, v99
	v_fmac_f32_e32 v79, 0x3f167918, v91
	v_fmac_f32_e32 v92, 0xbf167918, v91
	v_fmac_f32_e32 v84, 0x3f167918, v93
	v_dual_add_f32 v94, v94, v95 :: v_dual_add_f32 v91, v96, v110
	v_fmac_f32_e32 v72, 0x3f167918, v140
	v_fma_f32 v95, -0.5, v97, v13
	v_dual_sub_f32 v97, v108, v110 :: v_dual_sub_f32 v96, v147, v111
	v_fmac_f32_e32 v12, 0xbf737871, v140
	v_fmac_f32_e32 v5, 0xbf167918, v93
	v_dual_add_f32 v93, v108, v114 :: v_dual_sub_f32 v98, v114, v112
	v_fmac_f32_e32 v78, 0x3f167918, v99
	v_dual_add_f32 v50, v50, v37 :: v_dual_fmac_f32 v79, 0x3e9e377a, v87
	v_dual_fmac_f32 v92, 0x3e9e377a, v87 :: v_dual_add_f32 v87, v91, v112
	v_fmac_f32_e32 v82, 0x3f167918, v163
	v_fmamk_f32 v91, v96, 0xbf737871, v95
	v_dual_fmac_f32 v12, 0x3f167918, v139 :: v_dual_sub_f32 v37, v158, v37
	s_delay_alu instid0(VALU_DEP_4)
	v_add_f32_e32 v87, v87, v114
	v_fma_f32 v13, -0.5, v93, v13
	v_add_f32_e32 v93, v97, v98
	v_dual_sub_f32 v97, v110, v108 :: v_dual_sub_f32 v98, v112, v114
	v_dual_fmac_f32 v78, 0x3e9e377a, v132 :: v_dual_fmac_f32 v5, 0x3e9e377a, v94
	v_dual_fmac_f32 v72, 0x3e9e377a, v137 :: v_dual_add_f32 v103, v116, v115
	v_dual_fmac_f32 v12, 0x3e9e377a, v138 :: v_dual_add_f32 v99, v113, v117
	v_fmac_f32_e32 v84, 0x3e9e377a, v94
	v_fmac_f32_e32 v95, 0x3f737871, v96
	v_fmamk_f32 v94, v37, 0x3f737871, v13
	v_dual_add_f32 v97, v97, v98 :: v_dual_add_f32 v98, v6, v116
	v_fmac_f32_e32 v13, 0xbf737871, v37
	v_fmac_f32_e32 v82, 0x3e9e377a, v107
	;; [unrolled: 1-line block ×4, first 2 shown]
	v_dual_add_f32 v37, v98, v113 :: v_dual_fmac_f32 v94, 0xbf167918, v96
	v_fma_f32 v99, -0.5, v99, v6
	v_dual_sub_f32 v98, v46, v47 :: v_dual_sub_f32 v101, v116, v113
	v_dual_sub_f32 v102, v115, v117 :: v_dual_fmac_f32 v13, 0x3f167918, v96
	v_dual_fmac_f32 v6, -0.5, v103 :: v_dual_sub_f32 v107, v119, v120
	v_sub_f32_e32 v100, v45, v48
	v_dual_fmac_f32 v8, 0x3e9e377a, v132 :: v_dual_fmac_f32 v91, 0x3e9e377a, v93
	v_fmac_f32_e32 v95, 0x3e9e377a, v93
	v_fmac_f32_e32 v94, 0x3e9e377a, v97
	s_delay_alu instid0(VALU_DEP_4)
	v_dual_fmamk_f32 v93, v100, 0x3f737871, v99 :: v_dual_add_f32 v96, v101, v102
	v_fmac_f32_e32 v13, 0x3e9e377a, v97
	v_fmac_f32_e32 v99, 0xbf737871, v100
	v_fmamk_f32 v97, v98, 0xbf737871, v6
	v_sub_f32_e32 v101, v113, v116
	v_dual_sub_f32 v102, v117, v115 :: v_dual_add_f32 v103, v14, v45
	v_add_f32_e32 v104, v46, v47
	v_fmac_f32_e32 v6, 0x3f737871, v98
	v_fmac_f32_e32 v93, 0x3f167918, v98
	;; [unrolled: 1-line block ×4, first 2 shown]
	v_add_f32_e32 v101, v101, v102
	v_add_f32_e32 v98, v103, v46
	v_fma_f32 v102, -0.5, v104, v14
	v_dual_sub_f32 v103, v116, v115 :: v_dual_fmac_f32 v6, 0xbf167918, v100
	v_dual_add_f32 v100, v45, v48 :: v_dual_sub_f32 v45, v46, v45
	v_sub_f32_e32 v46, v47, v48
	v_fmac_f32_e32 v93, 0x3e9e377a, v96
	v_dual_fmac_f32 v99, 0x3e9e377a, v96 :: v_dual_add_f32 v96, v98, v47
	v_fmamk_f32 v98, v103, 0xbf737871, v102
	v_sub_f32_e32 v104, v113, v117
	v_sub_f32_e32 v106, v48, v47
	v_fmac_f32_e32 v14, -0.5, v100
	v_dual_fmac_f32 v102, 0x3f737871, v103 :: v_dual_add_f32 v47, v119, v120
	v_add_f32_e32 v45, v45, v46
	v_dual_add_f32 v46, v1, v118 :: v_dual_fmac_f32 v97, 0x3e9e377a, v101
	v_fmac_f32_e32 v6, 0x3e9e377a, v101
	v_add_f32_e32 v96, v96, v48
	v_fmac_f32_e32 v98, 0xbf167918, v104
	v_dual_add_f32 v100, v105, v106 :: v_dual_fmamk_f32 v101, v104, 0x3f737871, v14
	v_fmac_f32_e32 v102, 0x3f167918, v104
	v_fmac_f32_e32 v14, 0xbf737871, v104
	v_fma_f32 v47, -0.5, v47, v1
	v_sub_f32_e32 v48, v41, v40
	v_add_f32_e32 v46, v46, v119
	v_add_f32_e32 v106, v118, v61
	v_fmac_f32_e32 v98, 0x3e9e377a, v100
	v_fmac_f32_e32 v101, 0xbf167918, v103
	v_fmac_f32_e32 v102, 0x3e9e377a, v100
	v_fmac_f32_e32 v14, 0x3f167918, v103
	v_dual_fmamk_f32 v100, v48, 0x3f737871, v47 :: v_dual_sub_f32 v103, v42, v43
	v_dual_sub_f32 v104, v118, v119 :: v_dual_sub_f32 v105, v61, v120
	v_fmac_f32_e32 v47, 0xbf737871, v48
	v_dual_add_f32 v46, v46, v120 :: v_dual_fmac_f32 v1, -0.5, v106
	v_fmac_f32_e32 v101, 0x3e9e377a, v45
	v_fmac_f32_e32 v100, 0x3f167918, v103
	s_delay_alu instid0(VALU_DEP_4)
	v_dual_add_f32 v104, v104, v105 :: v_dual_fmac_f32 v47, 0xbf167918, v103
	v_fmac_f32_e32 v14, 0x3e9e377a, v45
	v_dual_add_f32 v45, v46, v61 :: v_dual_fmamk_f32 v46, v103, 0xbf737871, v1
	v_dual_sub_f32 v105, v119, v118 :: v_dual_sub_f32 v106, v120, v61
	v_fmac_f32_e32 v1, 0x3f737871, v103
	v_dual_add_f32 v103, v9, v41 :: v_dual_add_f32 v50, v50, v111
	v_fmac_f32_e32 v47, 0x3e9e377a, v104
	v_fmac_f32_e32 v100, 0x3e9e377a, v104
	v_add_f32_e32 v104, v42, v43
	v_dual_fmac_f32 v46, 0x3f167918, v48 :: v_dual_add_f32 v105, v105, v106
	v_dual_fmac_f32 v1, 0xbf167918, v48 :: v_dual_add_f32 v48, v103, v42
	v_add_f32_e32 v106, v41, v40
	s_delay_alu instid0(VALU_DEP_4) | instskip(NEXT) | instid1(VALU_DEP_4)
	v_fma_f32 v104, -0.5, v104, v9
	v_fmac_f32_e32 v46, 0x3e9e377a, v105
	s_delay_alu instid0(VALU_DEP_4) | instskip(NEXT) | instid1(VALU_DEP_4)
	v_dual_fmac_f32 v1, 0x3e9e377a, v105 :: v_dual_add_f32 v48, v48, v43
	v_fmac_f32_e32 v9, -0.5, v106
	v_dual_sub_f32 v105, v41, v42 :: v_dual_sub_f32 v106, v40, v43
	v_dual_sub_f32 v41, v42, v41 :: v_dual_sub_f32 v42, v43, v40
	ds_store_2addr_b32 v25, v34, v38 offset1:77
	ds_store_2addr_b32 v25, v36, v44 offset0:154 offset1:231
	ds_store_b32 v25, v18 offset:1232
	v_add_f32_e32 v43, v105, v106
	v_add_f32_e32 v105, v48, v40
	v_cndmask_b32_e64 v40, 0, 0x604, s0
	v_lshl_add_u32 v18, v52, 2, 0
	v_sub_f32_e32 v61, v118, v61
	v_mul_u32_u24_e32 v34, 0x604, v57
	v_fmamk_f32 v108, v107, 0x3f737871, v9
	v_add3_u32 v28, 0, v40, v28
	ds_store_2addr_b32 v28, v49, v77 offset1:77
	ds_store_2addr_b32 v28, v78, v8 offset0:154 offset1:231
	ds_store_b32 v28, v39 offset:1232
	v_add_nc_u32_e32 v8, 0xc00, v18
	v_fmamk_f32 v103, v61, 0xbf737871, v104
	v_fmac_f32_e32 v104, 0x3f737871, v61
	v_fmac_f32_e32 v9, 0xbf737871, v107
	v_add_f32_e32 v37, v37, v117
	ds_store_2addr_b32 v23, v51, v80 offset1:77
	ds_store_2addr_b32 v23, v82, v35 offset0:154 offset1:231
	ds_store_b32 v23, v33 offset:1232
	ds_store_2addr_b32 v8, v75, v86 offset0:2 offset1:79
	v_mul_u32_u24_e32 v33, 0x604, v60
	v_add3_u32 v67, 0, v34, v67
	ds_store_2addr_b32 v8, v76, v4 offset0:156 offset1:233
	v_lshl_add_u32 v4, v65, 2, 0
	v_fmac_f32_e32 v103, 0xbf167918, v107
	v_fmac_f32_e32 v104, 0x3f167918, v107
	v_dual_fmac_f32 v108, 0xbf167918, v61 :: v_dual_add_f32 v41, v41, v42
	v_fmac_f32_e32 v9, 0x3f167918, v61
	v_add_f32_e32 v37, v37, v115
	v_add3_u32 v66, 0, v33, v66
	ds_store_b32 v18, v32 offset:4312
	ds_store_2addr_b32 v67, v50, v79 offset1:77
	ds_store_2addr_b32 v67, v84, v5 offset0:154 offset1:231
	v_add_nc_u32_e32 v5, 0x1800, v4
	v_fmac_f32_e32 v103, 0x3e9e377a, v43
	v_fmac_f32_e32 v104, 0x3e9e377a, v43
	;; [unrolled: 1-line block ×4, first 2 shown]
	ds_store_b32 v67, v92 offset:1232
	ds_store_2addr_b32 v66, v37, v93 offset1:77
	ds_store_2addr_b32 v66, v97, v6 offset0:154 offset1:231
	ds_store_b32 v66, v99 offset:1232
	ds_store_2addr_b32 v5, v45, v100 offset0:4 offset1:81
	ds_store_2addr_b32 v5, v46, v1 offset0:158 offset1:235
	ds_store_b32 v4, v47 offset:7392
	s_waitcnt lgkmcnt(0)
	s_barrier
	buffer_gl0_inv
	ds_load_2addr_b32 v[32:33], v25 offset1:55
	ds_load_2addr_b32 v[40:41], v54 offset0:74 offset1:129
	ds_load_2addr_b32 v[34:35], v53 offset0:2 offset1:57
	;; [unrolled: 1-line block ×16, first 2 shown]
	ds_load_b32 v70, v25 offset:7480
	s_waitcnt lgkmcnt(0)
	s_barrier
	buffer_gl0_inv
	ds_store_2addr_b32 v25, v71, v10 offset1:77
	ds_store_2addr_b32 v25, v11, v7 offset0:154 offset1:231
	ds_store_b32 v25, v2 offset:1232
	ds_store_2addr_b32 v28, v22, v17 offset1:77
	ds_store_2addr_b32 v28, v19, v12 offset0:154 offset1:231
	ds_store_b32 v28, v72 offset:1232
	;; [unrolled: 3-line block ×3, first 2 shown]
	ds_store_2addr_b32 v8, v83, v74 offset0:2 offset1:79
	ds_store_2addr_b32 v8, v81, v16 offset0:156 offset1:233
	ds_store_b32 v18, v85 offset:4312
	ds_store_2addr_b32 v67, v87, v91 offset1:77
	ds_store_2addr_b32 v67, v94, v13 offset0:154 offset1:231
	ds_store_b32 v67, v95 offset:1232
	ds_store_2addr_b32 v66, v96, v98 offset1:77
	ds_store_2addr_b32 v66, v101, v14 offset0:154 offset1:231
	ds_store_b32 v66, v102 offset:1232
	ds_store_2addr_b32 v5, v105, v103 offset0:4 offset1:81
	ds_store_2addr_b32 v5, v108, v9 offset0:158 offset1:235
	ds_store_b32 v4, v104 offset:7392
	s_waitcnt lgkmcnt(0)
	s_barrier
	buffer_gl0_inv
	s_and_saveexec_b32 s0, vcc_lo
	s_cbranch_execz .LBB0_21
; %bb.20:
	v_lshlrev_b32_e32 v28, 2, v68
	s_delay_alu instid0(VALU_DEP_1) | instskip(NEXT) | instid1(VALU_DEP_1)
	v_lshlrev_b64 v[1:2], 3, v[28:29]
	v_add_co_u32 v1, vcc_lo, s4, v1
	s_delay_alu instid0(VALU_DEP_2)
	v_add_co_ci_u32_e32 v2, vcc_lo, s5, v2, vcc_lo
	s_clause 0x1
	global_load_b128 v[12:15], v[1:2], off offset:3024
	global_load_b128 v[8:11], v[1:2], off offset:3040
	v_lshlrev_b32_e32 v28, 2, v0
	v_add_nc_u32_e32 v87, 0x800, v25
	v_add_nc_u32_e32 v103, 0x1000, v25
	;; [unrolled: 1-line block ×4, first 2 shown]
	v_lshlrev_b64 v[0:1], 3, v[28:29]
	v_lshlrev_b32_e32 v28, 2, v69
	s_delay_alu instid0(VALU_DEP_1) | instskip(NEXT) | instid1(VALU_DEP_3)
	v_lshlrev_b64 v[16:17], 3, v[28:29]
	v_add_co_u32 v0, vcc_lo, s4, v0
	s_delay_alu instid0(VALU_DEP_4)
	v_add_co_ci_u32_e32 v1, vcc_lo, s5, v1, vcc_lo
	v_lshlrev_b32_e32 v28, 2, v90
	s_clause 0x1
	global_load_b128 v[4:7], v[0:1], off offset:3024
	global_load_b128 v[0:3], v[0:1], off offset:3040
	v_add_co_u32 v16, vcc_lo, s4, v16
	v_lshlrev_b64 v[66:67], 3, v[28:29]
	v_add_co_ci_u32_e32 v17, vcc_lo, s5, v17, vcc_lo
	v_lshlrev_b32_e32 v28, 2, v89
	s_clause 0x1
	global_load_b128 v[20:23], v[16:17], off offset:3024
	global_load_b128 v[16:19], v[16:17], off offset:3040
	v_add_co_u32 v66, vcc_lo, s4, v66
	v_add_co_ci_u32_e32 v67, vcc_lo, s5, v67, vcc_lo
	s_clause 0x1
	global_load_b128 v[73:76], v[66:67], off offset:3024
	global_load_b128 v[77:80], v[66:67], off offset:3040
	v_lshlrev_b64 v[66:67], 3, v[28:29]
	v_add_nc_u32_e32 v104, 0x400, v25
	v_lshlrev_b32_e32 v28, 2, v88
	v_add_nc_u32_e32 v102, 0x1a00, v25
	s_delay_alu instid0(VALU_DEP_4)
	v_add_co_u32 v66, vcc_lo, s4, v66
	v_add_co_ci_u32_e32 v67, vcc_lo, s5, v67, vcc_lo
	s_clause 0x1
	global_load_b128 v[81:84], v[66:67], off offset:3024
	global_load_b128 v[89:92], v[66:67], off offset:3040
	ds_load_b32 v129, v25 offset:7480
	ds_load_2addr_b32 v[66:67], v25 offset0:110 offset1:165
	s_clause 0x1
	global_load_b128 v[93:96], v[30:31], off offset:3040
	global_load_b128 v[97:100], v[30:31], off offset:3024
	ds_load_2addr_b32 v[30:31], v87 offset0:148 offset1:203
	ds_load_2addr_b32 v[105:106], v103 offset0:76 offset1:131
	;; [unrolled: 1-line block ×5, first 2 shown]
	v_lshlrev_b64 v[85:86], 3, v[28:29]
	v_add_nc_u32_e32 v115, 0x200, v25
	v_add_nc_u32_e32 v71, 0xc00, v25
	;; [unrolled: 1-line block ×3, first 2 shown]
	s_waitcnt vmcnt(11) lgkmcnt(4)
	v_mul_f32_e32 v28, v12, v31
	s_waitcnt vmcnt(10) lgkmcnt(2)
	v_mul_f32_e32 v132, v8, v108
	v_dual_mul_f32 v108, v9, v108 :: v_dual_mul_f32 v131, v10, v129
	v_mul_f32_e32 v31, v13, v31
	v_mul_f32_e32 v129, v11, v129
	s_delay_alu instid0(VALU_DEP_4) | instskip(NEXT) | instid1(VALU_DEP_4)
	v_fmac_f32_e32 v132, v65, v9
	v_fma_f32 v8, v65, v8, -v108
	v_mul_f32_e32 v130, v14, v105
	v_mul_f32_e32 v105, v15, v105
	v_fmac_f32_e32 v131, v70, v11
	v_fma_f32 v11, v63, v12, -v31
	v_fma_f32 v12, v70, v10, -v129
	s_delay_alu instid0(VALU_DEP_4) | instskip(NEXT) | instid1(VALU_DEP_2)
	v_fma_f32 v9, v36, v14, -v105
	v_dual_fmac_f32 v28, v63, v13 :: v_dual_sub_f32 v139, v8, v12
	s_waitcnt vmcnt(9)
	s_delay_alu instid0(VALU_DEP_2)
	v_dual_add_f32 v129, v9, v8 :: v_dual_mul_f32 v10, v4, v30
	ds_load_2addr_b32 v[113:114], v102 offset0:96 offset1:151
	ds_load_2addr_b32 v[115:116], v115 offset0:92 offset1:147
	;; [unrolled: 1-line block ×4, first 2 shown]
	v_add_co_u32 v101, vcc_lo, s4, v85
	v_add_co_ci_u32_e32 v102, vcc_lo, s5, v86, vcc_lo
	s_waitcnt lgkmcnt(4)
	v_mul_f32_e32 v13, v6, v112
	v_dual_sub_f32 v105, v9, v8 :: v_dual_fmac_f32 v130, v36, v15
	s_waitcnt vmcnt(8)
	v_mul_f32_e32 v36, v0, v107
	v_mul_f32_e32 v15, v1, v107
	ds_load_2addr_b32 v[121:122], v71 offset0:112 offset1:167
	ds_load_2addr_b32 v[123:124], v72 offset0:114 offset1:169
	;; [unrolled: 1-line block ×4, first 2 shown]
	s_clause 0x1
	global_load_b128 v[85:88], v[101:102], off offset:3040
	global_load_b128 v[101:104], v[101:102], off offset:3024
	v_dual_mul_f32 v14, v7, v112 :: v_dual_sub_f32 v133, v28, v131
	v_dual_mul_f32 v30, v5, v30 :: v_dual_sub_f32 v107, v11, v12
	v_sub_f32_e32 v65, v28, v130
	s_waitcnt lgkmcnt(7)
	v_mul_f32_e32 v31, v2, v114
	v_mul_f32_e32 v63, v3, v114
	v_dual_sub_f32 v70, v131, v132 :: v_dual_add_f32 v137, v28, v131
	v_add_f32_e32 v108, v130, v132
	v_dual_sub_f32 v112, v11, v9 :: v_dual_sub_f32 v135, v130, v28
	v_dual_sub_f32 v114, v12, v8 :: v_dual_fmac_f32 v13, v61, v7
	v_dual_sub_f32 v134, v130, v132 :: v_dual_fmac_f32 v31, v59, v3
	s_waitcnt vmcnt(9) lgkmcnt(5)
	v_dual_sub_f32 v136, v132, v131 :: v_dual_mul_f32 v7, v21, v118
	v_sub_f32_e32 v138, v9, v11
	v_add_f32_e32 v140, v11, v12
	v_add_f32_e32 v28, v28, v109
	v_dual_add_f32 v11, v40, v11 :: v_dual_fmac_f32 v10, v62, v5
	v_dual_fmac_f32 v36, v64, v1 :: v_dual_mul_f32 v5, v23, v111
	v_fma_f32 v14, v61, v6, -v14
	v_fma_f32 v61, v64, v0, -v15
	;; [unrolled: 1-line block ×4, first 2 shown]
	v_mul_f32_e32 v15, v20, v118
	v_mul_f32_e32 v59, v22, v111
	s_waitcnt vmcnt(8)
	v_dual_mul_f32 v62, v18, v113 :: v_dual_add_f32 v65, v65, v70
	s_waitcnt lgkmcnt(4)
	v_mul_f32_e32 v63, v16, v120
	v_mul_f32_e32 v6, v17, v120
	v_dual_mul_f32 v64, v19, v113 :: v_dual_add_f32 v113, v13, v36
	v_fma_f32 v1, -0.5, v108, v109
	v_dual_add_f32 v70, v112, v114 :: v_dual_add_f32 v9, v11, v9
	v_fma_f32 v0, -0.5, v129, v40
	v_dual_add_f32 v108, v135, v136 :: v_dual_sub_f32 v11, v10, v13
	v_fma_f32 v3, -0.5, v137, v109
	v_add_f32_e32 v109, v138, v139
	v_fma_f32 v2, -0.5, v140, v40
	v_dual_add_f32 v28, v130, v28 :: v_dual_sub_f32 v135, v13, v10
	v_dual_sub_f32 v40, v31, v36 :: v_dual_sub_f32 v111, v14, v61
	v_dual_sub_f32 v114, v4, v14 :: v_dual_add_f32 v137, v10, v31
	v_dual_sub_f32 v118, v30, v61 :: v_dual_sub_f32 v139, v61, v30
	v_dual_add_f32 v120, v14, v61 :: v_dual_fmac_f32 v59, v60, v23
	v_dual_sub_f32 v130, v13, v36 :: v_dual_fmac_f32 v63, v55, v17
	v_dual_sub_f32 v136, v36, v31 :: v_dual_add_f32 v141, v10, v116
	v_dual_sub_f32 v138, v14, v4 :: v_dual_fmac_f32 v15, v57, v21
	s_waitcnt vmcnt(7)
	v_dual_add_f32 v140, v4, v30 :: v_dual_mul_f32 v23, v73, v117
	v_dual_add_f32 v142, v53, v4 :: v_dual_mul_f32 v17, v74, v117
	s_waitcnt lgkmcnt(3)
	v_dual_fmac_f32 v62, v58, v19 :: v_dual_mul_f32 v19, v76, v122
	v_fma_f32 v55, v55, v16, -v6
	v_fma_f32 v16, v57, v20, -v7
	;; [unrolled: 1-line block ×3, first 2 shown]
	s_waitcnt vmcnt(6) lgkmcnt(2)
	v_mul_f32_e32 v64, v79, v124
	v_mul_f32_e32 v18, v80, v124
	v_dual_sub_f32 v112, v4, v30 :: v_dual_sub_f32 v129, v10, v31
	v_fma_f32 v22, v60, v22, -v5
	v_dual_mul_f32 v58, v75, v122 :: v_dual_fmamk_f32 v7, v105, 0xbf737871, v3
	v_dual_mul_f32 v60, v77, v119 :: v_dual_fmamk_f32 v5, v107, 0x3f737871, v1
	v_dual_mul_f32 v20, v78, v119 :: v_dual_add_f32 v21, v132, v28
	v_fmamk_f32 v4, v133, 0xbf737871, v0
	v_dual_fmamk_f32 v6, v134, 0x3f737871, v2 :: v_dual_fmac_f32 v3, 0x3f737871, v105
	v_dual_fmac_f32 v2, 0xbf737871, v134 :: v_dual_sub_f32 v119, v62, v63
	v_dual_add_f32 v28, v9, v8 :: v_dual_add_f32 v117, v142, v14
	v_dual_fmac_f32 v1, 0xbf737871, v107 :: v_dual_add_f32 v40, v11, v40
	v_fmac_f32_e32 v23, v56, v74
	v_fma_f32 v9, -0.5, v113, v116
	v_add_f32_e32 v113, v114, v118
	v_fma_f32 v8, -0.5, v120, v53
	v_fma_f32 v11, -0.5, v137, v116
	;; [unrolled: 1-line block ×3, first 2 shown]
	v_dual_add_f32 v53, v13, v141 :: v_dual_sub_f32 v118, v15, v59
	v_dual_add_f32 v146, v52, v16 :: v_dual_fmac_f32 v3, 0xbf167918, v107
	v_fmac_f32_e32 v64, v49, v80
	v_fma_f32 v56, v56, v73, -v17
	v_fmamk_f32 v17, v111, 0xbf737871, v11
	v_fma_f32 v73, v49, v79, -v18
	v_fmac_f32_e32 v0, 0x3f737871, v133
	v_add_f32_e32 v114, v135, v136
	v_dual_add_f32 v116, v138, v139 :: v_dual_sub_f32 v137, v15, v62
	v_dual_sub_f32 v120, v22, v55 :: v_dual_add_f32 v141, v15, v62
	v_dual_sub_f32 v122, v16, v57 :: v_dual_sub_f32 v139, v59, v15
	v_add_f32_e32 v124, v59, v63
	v_dual_sub_f32 v132, v16, v22 :: v_dual_sub_f32 v143, v55, v57
	v_sub_f32_e32 v135, v57, v55
	v_dual_add_f32 v136, v22, v55 :: v_dual_fmac_f32 v5, 0x3f167918, v105
	v_dual_sub_f32 v138, v59, v63 :: v_dual_fmac_f32 v1, 0xbf167918, v105
	v_dual_sub_f32 v140, v63, v62 :: v_dual_fmac_f32 v7, 0x3f167918, v107
	v_dual_sub_f32 v142, v22, v16 :: v_dual_add_f32 v145, v15, v115
	s_waitcnt vmcnt(4)
	v_dual_add_f32 v144, v16, v57 :: v_dual_mul_f32 v79, v91, v123
	v_dual_fmac_f32 v58, v51, v76 :: v_dual_fmamk_f32 v15, v112, 0x3f737871, v9
	v_dual_fmac_f32 v60, v54, v78 :: v_dual_add_f32 v13, v131, v21
	v_fma_f32 v74, v51, v75, -v19
	v_fma_f32 v75, v54, v77, -v20
	s_waitcnt lgkmcnt(1)
	v_dual_mul_f32 v77, v81, v126 :: v_dual_mul_f32 v78, v83, v121
	v_fmac_f32_e32 v11, 0x3f737871, v111
	s_waitcnt lgkmcnt(0)
	v_dual_mul_f32 v49, v84, v121 :: v_dual_mul_f32 v80, v89, v128
	v_add_f32_e32 v105, v118, v119
	v_mul_f32_e32 v51, v90, v128
	v_dual_mul_f32 v54, v82, v126 :: v_dual_fmac_f32 v9, 0xbf737871, v112
	v_fmac_f32_e32 v2, 0x3f167918, v133
	v_add_f32_e32 v12, v12, v28
	v_dual_fmamk_f32 v14, v129, 0xbf737871, v8 :: v_dual_add_f32 v119, v23, v64
	v_add_f32_e32 v28, v36, v53
	v_dual_add_f32 v36, v117, v61 :: v_dual_add_f32 v53, v146, v22
	v_dual_add_f32 v126, v56, v73 :: v_dual_fmac_f32 v7, 0x3e9e377a, v108
	v_dual_mul_f32 v76, v92, v123 :: v_dual_add_f32 v117, v139, v140
	v_dual_fmac_f32 v4, 0xbf167918, v134 :: v_dual_add_f32 v107, v132, v135
	v_fmac_f32_e32 v6, 0xbf167918, v133
	v_dual_fmac_f32 v0, 0x3f167918, v134 :: v_dual_sub_f32 v61, v60, v64
	v_dual_fmamk_f32 v16, v130, 0x3f737871, v10 :: v_dual_sub_f32 v131, v23, v64
	v_dual_fmac_f32 v10, 0xbf737871, v130 :: v_dual_sub_f32 v121, v74, v75
	v_dual_fmac_f32 v8, 0x3f737871, v129 :: v_dual_sub_f32 v123, v74, v56
	v_fma_f32 v19, -0.5, v124, v115
	v_fma_f32 v18, -0.5, v136, v52
	;; [unrolled: 1-line block ×4, first 2 shown]
	v_dual_add_f32 v52, v59, v145 :: v_dual_sub_f32 v135, v56, v74
	v_dual_sub_f32 v59, v58, v23 :: v_dual_sub_f32 v118, v56, v73
	v_dual_fmac_f32 v77, v45, v82 :: v_dual_sub_f32 v128, v58, v60
	v_fmac_f32_e32 v5, 0x3e9e377a, v65
	v_sub_f32_e32 v133, v64, v60
	v_dual_add_f32 v134, v58, v60 :: v_dual_fmac_f32 v1, 0x3e9e377a, v65
	v_dual_sub_f32 v136, v73, v75 :: v_dual_fmac_f32 v17, 0x3f167918, v112
	v_add_f32_e32 v139, v74, v75
	v_dual_add_f32 v140, v23, v67 :: v_dual_fmac_f32 v11, 0xbf167918, v112
	v_dual_add_f32 v56, v47, v56 :: v_dual_fmac_f32 v15, 0x3f167918, v111
	v_dual_fmac_f32 v78, v50, v84 :: v_dual_fmac_f32 v9, 0xbf167918, v111
	v_fmac_f32_e32 v80, v43, v90
	v_fma_f32 v82, v50, v83, -v49
	v_fma_f32 v43, v43, v89, -v51
	v_dual_add_f32 v22, v30, v36 :: v_dual_fmamk_f32 v49, v120, 0xbf737871, v21
	v_dual_add_f32 v36, v53, v55 :: v_dual_fmac_f32 v15, 0x3e9e377a, v40
	v_fma_f32 v51, -0.5, v119, v67
	v_fma_f32 v50, -0.5, v126, v47
	v_dual_sub_f32 v124, v75, v73 :: v_dual_fmac_f32 v79, v48, v92
	v_dual_sub_f32 v132, v23, v58 :: v_dual_fmac_f32 v3, 0x3e9e377a, v108
	v_fma_f32 v45, v45, v81, -v54
	v_fma_f32 v81, v48, v91, -v76
	v_dual_fmac_f32 v4, 0x3e9e377a, v70 :: v_dual_add_f32 v23, v31, v28
	v_fmac_f32_e32 v2, 0x3e9e377a, v109
	v_dual_fmac_f32 v0, 0x3e9e377a, v70 :: v_dual_add_f32 v65, v59, v61
	v_dual_fmac_f32 v14, 0xbf167918, v130 :: v_dual_add_f32 v61, v74, v56
	v_fmamk_f32 v31, v122, 0x3f737871, v19
	v_fmac_f32_e32 v10, 0x3f167918, v129
	v_dual_fmamk_f32 v48, v138, 0x3f737871, v20 :: v_dual_fmac_f32 v21, 0x3f737871, v120
	v_dual_add_f32 v28, v63, v52 :: v_dual_fmac_f32 v17, 0x3e9e377a, v114
	v_fmac_f32_e32 v20, 0xbf737871, v138
	v_fma_f32 v53, -0.5, v134, v67
	v_fma_f32 v52, -0.5, v139, v47
	s_delay_alu instid0(VALU_DEP_4) | instskip(SKIP_3) | instid1(VALU_DEP_3)
	v_add_f32_e32 v55, v62, v28
	v_add_f32_e32 v47, v58, v140
	;; [unrolled: 1-line block ×3, first 2 shown]
	v_dual_add_f32 v54, v57, v36 :: v_dual_fmamk_f32 v59, v118, 0xbf737871, v53
	v_dual_fmamk_f32 v57, v121, 0xbf737871, v51 :: v_dual_add_f32 v28, v60, v47
	v_dual_fmamk_f32 v56, v128, 0x3f737871, v50 :: v_dual_fmac_f32 v51, 0x3f737871, v121
	v_dual_add_f32 v115, v142, v143 :: v_dual_sub_f32 v84, v45, v81
	v_fmac_f32_e32 v49, 0x3f167918, v122
	v_dual_fmac_f32 v48, 0xbf167918, v137 :: v_dual_fmac_f32 v21, 0xbf167918, v122
	v_dual_fmac_f32 v20, 0x3f167918, v137 :: v_dual_fmac_f32 v57, 0x3f167918, v118
	v_add_f32_e32 v36, v61, v75
	v_dual_fmac_f32 v50, 0xbf737871, v128 :: v_dual_sub_f32 v47, v45, v82
	v_fma_f32 v61, -0.5, v63, v66
	v_dual_fmac_f32 v56, 0xbf167918, v131 :: v_dual_fmac_f32 v51, 0xbf167918, v118
	v_dual_fmac_f32 v16, 0xbf167918, v129 :: v_dual_sub_f32 v83, v79, v80
	v_dual_fmamk_f32 v30, v137, 0xbf737871, v18 :: v_dual_fmac_f32 v19, 0xbf737871, v122
	v_dual_add_f32 v70, v123, v124 :: v_dual_fmac_f32 v11, 0x3e9e377a, v114
	v_dual_add_f32 v76, v132, v133 :: v_dual_fmac_f32 v9, 0x3e9e377a, v40
	s_delay_alu instid0(VALU_DEP_3)
	v_dual_sub_f32 v74, v77, v78 :: v_dual_fmac_f32 v19, 0xbf167918, v120
	v_fmamk_f32 v58, v131, 0x3f737871, v52
	v_dual_fmac_f32 v48, 0x3e9e377a, v115 :: v_dual_fmac_f32 v57, 0x3e9e377a, v65
	v_dual_fmac_f32 v20, 0x3e9e377a, v115 :: v_dual_fmac_f32 v51, 0x3e9e377a, v65
	v_fmac_f32_e32 v50, 0x3f167918, v131
	v_dual_sub_f32 v40, v82, v43 :: v_dual_fmamk_f32 v65, v84, 0x3f737871, v61
	v_dual_fmac_f32 v14, 0x3e9e377a, v113 :: v_dual_add_f32 v63, v64, v28
	v_fmac_f32_e32 v21, 0x3e9e377a, v117
	s_delay_alu instid0(VALU_DEP_3)
	v_dual_add_f32 v62, v36, v73 :: v_dual_fmac_f32 v65, 0x3f167918, v40
	v_dual_fmac_f32 v56, 0x3e9e377a, v70 :: v_dual_sub_f32 v89, v82, v45
	v_add_f32_e32 v28, v74, v83
	v_dual_sub_f32 v83, v78, v80 :: v_dual_fmac_f32 v50, 0x3e9e377a, v70
	v_add_f32_e32 v70, v45, v81
	v_dual_sub_f32 v64, v81, v43 :: v_dual_fmac_f32 v61, 0xbf737871, v84
	v_fmac_f32_e32 v52, 0xbf737871, v131
	v_dual_fmac_f32 v6, 0x3e9e377a, v109 :: v_dual_add_f32 v67, v135, v136
	s_delay_alu instid0(VALU_DEP_4) | instskip(NEXT) | instid1(VALU_DEP_4)
	v_fma_f32 v73, -0.5, v70, v46
	v_add_f32_e32 v47, v47, v64
	s_delay_alu instid0(VALU_DEP_4)
	v_fmac_f32_e32 v52, 0xbf167918, v128
	v_fmac_f32_e32 v58, 0x3f167918, v128
	v_dual_fmac_f32 v18, 0x3f737871, v137 :: v_dual_fmac_f32 v53, 0x3f737871, v118
	v_fmamk_f32 v75, v83, 0x3f737871, v73
	v_sub_f32_e32 v90, v43, v81
	v_fmac_f32_e32 v52, 0x3e9e377a, v67
	v_fmac_f32_e32 v73, 0xbf737871, v83
	v_dual_fmac_f32 v8, 0x3f167918, v130 :: v_dual_fmac_f32 v31, 0x3f167918, v120
	s_delay_alu instid0(VALU_DEP_4) | instskip(SKIP_2) | instid1(VALU_DEP_3)
	v_dual_add_f32 v89, v89, v90 :: v_dual_add_f32 v36, v82, v43
	v_dual_fmac_f32 v30, 0xbf167918, v138 :: v_dual_fmac_f32 v59, 0xbf167918, v121
	v_dual_fmac_f32 v18, 0x3f167918, v138 :: v_dual_fmac_f32 v53, 0x3f167918, v121
	v_fma_f32 v60, -0.5, v36, v46
	v_sub_f32_e32 v36, v77, v79
	s_delay_alu instid0(VALU_DEP_4) | instskip(NEXT) | instid1(VALU_DEP_4)
	v_dual_fmac_f32 v8, 0x3e9e377a, v113 :: v_dual_fmac_f32 v59, 0x3e9e377a, v76
	v_dual_fmac_f32 v18, 0x3e9e377a, v107 :: v_dual_fmac_f32 v53, 0x3e9e377a, v76
	s_delay_alu instid0(VALU_DEP_3)
	v_fmac_f32_e32 v75, 0xbf167918, v36
	v_dual_fmac_f32 v61, 0xbf167918, v40 :: v_dual_sub_f32 v70, v80, v79
	v_fmac_f32_e32 v73, 0x3f167918, v36
	v_fmac_f32_e32 v58, 0x3e9e377a, v67
	v_dual_add_f32 v67, v77, v79 :: v_dual_fmamk_f32 v64, v36, 0xbf737871, v60
	v_fmac_f32_e32 v65, 0x3e9e377a, v28
	v_fmac_f32_e32 v61, 0x3e9e377a, v28
	;; [unrolled: 1-line block ×3, first 2 shown]
	s_delay_alu instid0(VALU_DEP_4) | instskip(SKIP_3) | instid1(VALU_DEP_3)
	v_fma_f32 v74, -0.5, v67, v66
	v_sub_f32_e32 v67, v78, v77
	v_dual_add_f32 v77, v77, v66 :: v_dual_fmac_f32 v64, 0xbf167918, v83
	v_fmac_f32_e32 v73, 0x3e9e377a, v89
	v_dual_fmamk_f32 v76, v40, 0xbf737871, v74 :: v_dual_add_f32 v91, v67, v70
	ds_load_2addr_b32 v[66:67], v71 offset0:2 offset1:57
	ds_load_2addr_b32 v[70:71], v72 offset0:4 offset1:59
	v_add_f32_e32 v72, v78, v77
	v_fmac_f32_e32 v60, 0x3f737871, v36
	v_fmac_f32_e32 v74, 0x3f737871, v40
	v_add_f32_e32 v40, v46, v45
	ds_load_2addr_b32 v[45:46], v25 offset1:55
	v_add_f32_e32 v36, v80, v72
	s_waitcnt vmcnt(1)
	v_mul_f32_e32 v80, v85, v127
	v_fmac_f32_e32 v64, 0x3e9e377a, v47
	v_add_f32_e32 v28, v40, v82
	v_add_co_u32 v26, vcc_lo, s8, v26
	v_add_f32_e32 v36, v79, v36
	v_fmac_f32_e32 v80, v42, v86
	s_delay_alu instid0(VALU_DEP_4)
	v_add_f32_e32 v28, v28, v43
	v_add_co_ci_u32_e32 v27, vcc_lo, s9, v27, vcc_lo
	v_dual_fmac_f32 v30, 0x3e9e377a, v107 :: v_dual_fmac_f32 v19, 0x3e9e377a, v105
	s_waitcnt vmcnt(0) lgkmcnt(2)
	v_mul_f32_e32 v25, v103, v67
	s_waitcnt lgkmcnt(1)
	v_dual_mul_f32 v79, v87, v71 :: v_dual_fmac_f32 v74, 0xbf167918, v84
	v_mul_f32_e32 v43, v88, v71
	v_mul_f32_e32 v67, v104, v67
	v_fmac_f32_e32 v25, v35, v104
	s_delay_alu instid0(VALU_DEP_4) | instskip(SKIP_3) | instid1(VALU_DEP_4)
	v_dual_fmac_f32 v79, v39, v88 :: v_dual_fmac_f32 v60, 0x3f167918, v83
	v_mul_f32_e32 v71, v86, v127
	v_fmac_f32_e32 v74, 0x3e9e377a, v91
	v_fma_f32 v82, v39, v87, -v43
	v_dual_add_f32 v39, v25, v80 :: v_dual_fmac_f32 v60, 0x3e9e377a, v47
	v_dual_mul_f32 v47, v101, v125 :: v_dual_fmac_f32 v76, 0x3f167918, v84
	v_fma_f32 v67, v35, v103, -v67
	v_fma_f32 v83, v42, v85, -v71
	v_add_f32_e32 v35, v81, v28
	s_delay_alu instid0(VALU_DEP_4) | instskip(NEXT) | instid1(VALU_DEP_3)
	v_dual_fmac_f32 v47, v44, v102 :: v_dual_fmac_f32 v76, 0x3e9e377a, v91
	v_dual_mul_f32 v40, v102, v125 :: v_dual_add_f32 v71, v67, v83
	v_sub_f32_e32 v77, v82, v83
	s_delay_alu instid0(VALU_DEP_3) | instskip(SKIP_1) | instid1(VALU_DEP_4)
	v_sub_f32_e32 v85, v47, v79
	v_sub_f32_e32 v42, v47, v25
	v_fma_f32 v44, v44, v101, -v40
	s_waitcnt lgkmcnt(0)
	v_fma_f32 v40, -0.5, v39, v46
	v_sub_f32_e32 v39, v79, v80
	v_sub_f32_e32 v28, v67, v83
	v_dual_sub_f32 v87, v25, v47 :: v_dual_sub_f32 v84, v44, v82
	v_dual_fmac_f32 v10, 0x3e9e377a, v116 :: v_dual_fmac_f32 v49, 0x3e9e377a, v117
	s_delay_alu instid0(VALU_DEP_4) | instskip(SKIP_1) | instid1(VALU_DEP_4)
	v_add_f32_e32 v81, v42, v39
	v_fma_f32 v39, -0.5, v71, v33
	v_fmamk_f32 v43, v84, 0x3f737871, v40
	v_sub_f32_e32 v71, v44, v67
	v_sub_f32_e32 v88, v80, v79
	;; [unrolled: 1-line block ×3, first 2 shown]
	v_fmac_f32_e32 v40, 0xbf737871, v84
	v_dual_fmac_f32 v16, 0x3e9e377a, v116 :: v_dual_fmac_f32 v31, 0x3e9e377a, v105
	v_add_f32_e32 v89, v71, v77
	v_add_f32_e32 v71, v44, v82
	v_dual_fmac_f32 v43, 0x3f167918, v28 :: v_dual_add_f32 v42, v47, v79
	v_sub_f32_e32 v77, v67, v44
	v_add_f32_e32 v87, v87, v88
	s_delay_alu instid0(VALU_DEP_4) | instskip(NEXT) | instid1(VALU_DEP_4)
	v_fma_f32 v71, -0.5, v71, v33
	v_fmac_f32_e32 v43, 0x3e9e377a, v81
	v_fma_f32 v72, -0.5, v42, v46
	v_fmamk_f32 v42, v85, 0xbf737871, v39
	v_dual_sub_f32 v88, v83, v82 :: v_dual_add_f32 v33, v33, v44
	v_dual_mul_f32 v44, v99, v66 :: v_dual_fmac_f32 v39, 0x3f737871, v85
	s_delay_alu instid0(VALU_DEP_4) | instskip(NEXT) | instid1(VALU_DEP_3)
	v_fmamk_f32 v78, v28, 0xbf737871, v72
	v_dual_add_f32 v88, v77, v88 :: v_dual_fmamk_f32 v77, v86, 0x3f737871, v71
	s_delay_alu instid0(VALU_DEP_4) | instskip(NEXT) | instid1(VALU_DEP_4)
	v_dual_add_f32 v33, v33, v67 :: v_dual_fmac_f32 v72, 0x3f737871, v28
	v_dual_fmac_f32 v44, v34, v100 :: v_dual_mul_f32 v67, v96, v70
	s_delay_alu instid0(VALU_DEP_3) | instskip(SKIP_4) | instid1(VALU_DEP_4)
	v_fmac_f32_e32 v77, 0xbf167918, v85
	v_fmac_f32_e32 v71, 0xbf737871, v86
	v_add_f32_e32 v46, v47, v46
	v_dual_fmac_f32 v42, 0xbf167918, v86 :: v_dual_add_f32 v33, v33, v83
	v_fmac_f32_e32 v39, 0x3f167918, v86
	v_dual_fmac_f32 v71, 0x3f167918, v85 :: v_dual_fmac_f32 v78, 0x3f167918, v84
	s_delay_alu instid0(VALU_DEP_4) | instskip(SKIP_1) | instid1(VALU_DEP_4)
	v_add_f32_e32 v25, v25, v46
	v_fma_f32 v83, v38, v95, -v67
	v_fmac_f32_e32 v39, 0x3e9e377a, v89
	v_dual_fmac_f32 v42, 0x3e9e377a, v89 :: v_dual_fmac_f32 v77, 0x3e9e377a, v88
	s_delay_alu instid0(VALU_DEP_4) | instskip(SKIP_2) | instid1(VALU_DEP_3)
	v_dual_fmac_f32 v78, 0x3e9e377a, v87 :: v_dual_add_f32 v25, v80, v25
	v_fmac_f32_e32 v72, 0xbf167918, v84
	v_fmac_f32_e32 v71, 0x3e9e377a, v88
	v_add_f32_e32 v47, v79, v25
	v_dual_mul_f32 v25, v97, v110 :: v_dual_fmac_f32 v40, 0xbf167918, v28
	v_mul_f32_e32 v28, v93, v106
	v_add_f32_e32 v46, v82, v33
	v_mul_f32_e32 v33, v98, v110
	s_delay_alu instid0(VALU_DEP_4) | instskip(NEXT) | instid1(VALU_DEP_4)
	v_dual_fmac_f32 v25, v41, v98 :: v_dual_fmac_f32 v72, 0x3e9e377a, v87
	v_fmac_f32_e32 v28, v37, v94
	v_mul_f32_e32 v82, v95, v70
	v_mul_f32_e32 v70, v94, v106
	v_fma_f32 v41, v41, v97, -v33
	v_mul_f32_e32 v66, v100, v66
	v_add_f32_e32 v33, v44, v28
	s_delay_alu instid0(VALU_DEP_3) | instskip(NEXT) | instid1(VALU_DEP_3)
	v_sub_f32_e32 v85, v41, v83
	v_fma_f32 v84, v34, v99, -v66
	s_delay_alu instid0(VALU_DEP_3)
	v_fma_f32 v34, -0.5, v33, v45
	v_sub_f32_e32 v33, v25, v44
	v_fmac_f32_e32 v82, v38, v96
	v_fma_f32 v70, v37, v93, -v70
	v_fmac_f32_e32 v40, 0x3e9e377a, v81
	v_fmamk_f32 v38, v85, 0x3f737871, v34
	v_add_f32_e32 v79, v41, v83
	s_delay_alu instid0(VALU_DEP_4) | instskip(SKIP_3) | instid1(VALU_DEP_4)
	v_dual_sub_f32 v37, v82, v28 :: v_dual_sub_f32 v86, v84, v70
	v_add_f32_e32 v66, v84, v70
	v_sub_f32_e32 v67, v83, v70
	v_sub_f32_e32 v93, v70, v83
	v_add_f32_e32 v81, v33, v37
	v_sub_f32_e32 v37, v41, v84
	v_fma_f32 v33, -0.5, v66, v32
	v_sub_f32_e32 v87, v25, v82
	v_add_f32_e32 v66, v25, v82
	v_fmac_f32_e32 v34, 0xbf737871, v85
	s_delay_alu instid0(VALU_DEP_3) | instskip(SKIP_1) | instid1(VALU_DEP_4)
	v_dual_add_f32 v88, v37, v67 :: v_dual_fmamk_f32 v37, v87, 0xbf737871, v33
	v_dual_fmac_f32 v38, 0x3f167918, v86 :: v_dual_sub_f32 v89, v44, v28
	v_fma_f32 v67, -0.5, v66, v45
	v_fma_f32 v66, -0.5, v79, v32
	v_sub_f32_e32 v90, v44, v25
	s_delay_alu instid0(VALU_DEP_4) | instskip(SKIP_3) | instid1(VALU_DEP_3)
	v_fmac_f32_e32 v38, 0x3e9e377a, v81
	v_add_f32_e32 v25, v25, v45
	v_dual_sub_f32 v91, v28, v82 :: v_dual_fmamk_f32 v80, v86, 0xbf737871, v67
	v_dual_fmamk_f32 v79, v89, 0x3f737871, v66 :: v_dual_sub_f32 v92, v84, v41
	v_add_f32_e32 v25, v44, v25
	s_delay_alu instid0(VALU_DEP_3) | instskip(NEXT) | instid1(VALU_DEP_4)
	v_dual_fmac_f32 v37, 0xbf167918, v89 :: v_dual_add_f32 v90, v90, v91
	v_fmac_f32_e32 v80, 0x3f167918, v85
	s_delay_alu instid0(VALU_DEP_4) | instskip(NEXT) | instid1(VALU_DEP_4)
	v_fmac_f32_e32 v79, 0xbf167918, v87
	v_dual_fmac_f32 v67, 0x3f737871, v86 :: v_dual_add_f32 v28, v28, v25
	v_mov_b32_e32 v25, v29
	s_delay_alu instid0(VALU_DEP_4) | instskip(NEXT) | instid1(VALU_DEP_3)
	v_dual_add_f32 v91, v92, v93 :: v_dual_fmac_f32 v80, 0x3e9e377a, v90
	v_dual_fmac_f32 v33, 0x3f737871, v87 :: v_dual_add_f32 v28, v82, v28
	s_delay_alu instid0(VALU_DEP_2) | instskip(NEXT) | instid1(VALU_DEP_4)
	v_dual_add_f32 v32, v32, v41 :: v_dual_fmac_f32 v79, 0x3e9e377a, v91
	v_lshlrev_b64 v[24:25], 3, v[24:25]
	s_delay_alu instid0(VALU_DEP_3) | instskip(SKIP_1) | instid1(VALU_DEP_4)
	v_fmac_f32_e32 v33, 0x3f167918, v89
	v_dual_fmac_f32 v67, 0xbf167918, v85 :: v_dual_fmac_f32 v34, 0xbf167918, v86
	v_add_f32_e32 v32, v32, v84
	s_delay_alu instid0(VALU_DEP_4) | instskip(SKIP_1) | instid1(VALU_DEP_3)
	v_add_co_u32 v24, vcc_lo, v26, v24
	v_mul_hi_u32 v26, 0x551c979b, v69
	v_dual_fmac_f32 v33, 0x3e9e377a, v88 :: v_dual_add_f32 v32, v32, v70
	v_fmac_f32_e32 v66, 0xbf737871, v89
	v_add_co_ci_u32_e32 v25, vcc_lo, v27, v25, vcc_lo
	v_add_co_u32 v44, vcc_lo, 0x1000, v24
	s_delay_alu instid0(VALU_DEP_4)
	v_add_f32_e32 v27, v83, v32
	v_lshrrev_b32_e32 v26, 7, v26
	v_dual_fmac_f32 v67, 0x3e9e377a, v90 :: v_dual_fmac_f32 v34, 0x3e9e377a, v81
	v_add_co_ci_u32_e32 v45, vcc_lo, 0, v25, vcc_lo
	s_clause 0x7
	global_store_b64 v[24:25], v[27:28], off
	global_store_b64 v[24:25], v[46:47], off offset:440
	global_store_b64 v[24:25], v[35:36], off offset:880
	;; [unrolled: 1-line block ×7, first 2 shown]
	v_mul_u32_u24_e32 v28, 0x604, v26
	v_add_co_u32 v81, vcc_lo, 0x2000, v24
	v_add_co_ci_u32_e32 v82, vcc_lo, 0, v25, vcc_lo
	s_delay_alu instid0(VALU_DEP_3) | instskip(SKIP_3) | instid1(VALU_DEP_4)
	v_lshlrev_b64 v[26:27], 3, v[28:29]
	v_mul_hi_u32 v28, 0x551c979b, v68
	v_add_co_u32 v83, vcc_lo, 0x3000, v24
	v_add_co_ci_u32_e32 v84, vcc_lo, 0, v25, vcc_lo
	v_add_co_u32 v26, vcc_lo, v24, v26
	v_add_co_ci_u32_e32 v27, vcc_lo, v25, v27, vcc_lo
	v_lshrrev_b32_e32 v28, 7, v28
	v_fmac_f32_e32 v66, 0x3f167918, v87
	s_delay_alu instid0(VALU_DEP_4) | instskip(NEXT) | instid1(VALU_DEP_4)
	v_add_co_u32 v32, vcc_lo, 0x6e0, v26
	v_add_co_ci_u32_e32 v33, vcc_lo, 0, v27, vcc_lo
	s_delay_alu instid0(VALU_DEP_4) | instskip(NEXT) | instid1(VALU_DEP_4)
	v_mul_u32_u24_e32 v28, 0x604, v28
	v_dual_fmac_f32 v37, 0x3e9e377a, v88 :: v_dual_fmac_f32 v66, 0x3e9e377a, v91
	v_add_co_u32 v34, vcc_lo, 0x1000, v26
	v_add_co_ci_u32_e32 v35, vcc_lo, 0, v27, vcc_lo
	v_add_co_u32 v36, vcc_lo, 0x2000, v26
	v_lshlrev_b64 v[28:29], 3, v[28:29]
	s_clause 0xb
	global_store_b64 v[44:45], v[66:67], off offset:2064
	global_store_b64 v[44:45], v[71:72], off offset:2504
	;; [unrolled: 1-line block ×12, first 2 shown]
	v_add_co_ci_u32_e32 v37, vcc_lo, 0, v27, vcc_lo
	v_add_co_u32 v38, vcc_lo, 0x3000, v26
	v_add_co_ci_u32_e32 v39, vcc_lo, 0, v27, vcc_lo
	s_clause 0x4
	global_store_b64 v[26:27], v[54:55], off offset:1760
	global_store_b64 v[32:33], v[18:19], off offset:3080
	;; [unrolled: 1-line block ×5, first 2 shown]
	v_add_co_u32 v18, vcc_lo, v24, v28
	v_add_co_ci_u32_e32 v19, vcc_lo, v25, v29, vcc_lo
	s_clause 0x3
	global_store_b64 v[24:25], v[22:23], off offset:2200
	global_store_b64 v[44:45], v[8:9], off offset:1184
	;; [unrolled: 1-line block ×4, first 2 shown]
	v_add_co_u32 v8, vcc_lo, 0xa50, v18
	v_add_co_ci_u32_e32 v9, vcc_lo, 0, v19, vcc_lo
	v_add_co_u32 v10, vcc_lo, 0x2000, v18
	v_add_co_ci_u32_e32 v11, vcc_lo, 0, v19, vcc_lo
	;; [unrolled: 2-line block ×3, first 2 shown]
	s_clause 0x5
	global_store_b64 v[83:84], v[14:15], off offset:2232
	global_store_b64 v[18:19], v[12:13], off offset:2640
	;; [unrolled: 1-line block ×6, first 2 shown]
.LBB0_21:
	s_nop 0
	s_sendmsg sendmsg(MSG_DEALLOC_VGPRS)
	s_endpgm
	.section	.rodata,"a",@progbits
	.p2align	6, 0x0
	.amdhsa_kernel fft_rtc_fwd_len1925_factors_7_11_5_5_wgs_55_tpt_55_halfLds_sp_ip_CI_unitstride_sbrr_dirReg
		.amdhsa_group_segment_fixed_size 0
		.amdhsa_private_segment_fixed_size 0
		.amdhsa_kernarg_size 88
		.amdhsa_user_sgpr_count 15
		.amdhsa_user_sgpr_dispatch_ptr 0
		.amdhsa_user_sgpr_queue_ptr 0
		.amdhsa_user_sgpr_kernarg_segment_ptr 1
		.amdhsa_user_sgpr_dispatch_id 0
		.amdhsa_user_sgpr_private_segment_size 0
		.amdhsa_wavefront_size32 1
		.amdhsa_uses_dynamic_stack 0
		.amdhsa_enable_private_segment 0
		.amdhsa_system_sgpr_workgroup_id_x 1
		.amdhsa_system_sgpr_workgroup_id_y 0
		.amdhsa_system_sgpr_workgroup_id_z 0
		.amdhsa_system_sgpr_workgroup_info 0
		.amdhsa_system_vgpr_workitem_id 0
		.amdhsa_next_free_vgpr 199
		.amdhsa_next_free_sgpr 21
		.amdhsa_reserve_vcc 1
		.amdhsa_float_round_mode_32 0
		.amdhsa_float_round_mode_16_64 0
		.amdhsa_float_denorm_mode_32 3
		.amdhsa_float_denorm_mode_16_64 3
		.amdhsa_dx10_clamp 1
		.amdhsa_ieee_mode 1
		.amdhsa_fp16_overflow 0
		.amdhsa_workgroup_processor_mode 1
		.amdhsa_memory_ordered 1
		.amdhsa_forward_progress 0
		.amdhsa_shared_vgpr_count 0
		.amdhsa_exception_fp_ieee_invalid_op 0
		.amdhsa_exception_fp_denorm_src 0
		.amdhsa_exception_fp_ieee_div_zero 0
		.amdhsa_exception_fp_ieee_overflow 0
		.amdhsa_exception_fp_ieee_underflow 0
		.amdhsa_exception_fp_ieee_inexact 0
		.amdhsa_exception_int_div_zero 0
	.end_amdhsa_kernel
	.text
.Lfunc_end0:
	.size	fft_rtc_fwd_len1925_factors_7_11_5_5_wgs_55_tpt_55_halfLds_sp_ip_CI_unitstride_sbrr_dirReg, .Lfunc_end0-fft_rtc_fwd_len1925_factors_7_11_5_5_wgs_55_tpt_55_halfLds_sp_ip_CI_unitstride_sbrr_dirReg
                                        ; -- End function
	.section	.AMDGPU.csdata,"",@progbits
; Kernel info:
; codeLenInByte = 24784
; NumSgprs: 23
; NumVgprs: 199
; ScratchSize: 0
; MemoryBound: 0
; FloatMode: 240
; IeeeMode: 1
; LDSByteSize: 0 bytes/workgroup (compile time only)
; SGPRBlocks: 2
; VGPRBlocks: 24
; NumSGPRsForWavesPerEU: 23
; NumVGPRsForWavesPerEU: 199
; Occupancy: 7
; WaveLimiterHint : 1
; COMPUTE_PGM_RSRC2:SCRATCH_EN: 0
; COMPUTE_PGM_RSRC2:USER_SGPR: 15
; COMPUTE_PGM_RSRC2:TRAP_HANDLER: 0
; COMPUTE_PGM_RSRC2:TGID_X_EN: 1
; COMPUTE_PGM_RSRC2:TGID_Y_EN: 0
; COMPUTE_PGM_RSRC2:TGID_Z_EN: 0
; COMPUTE_PGM_RSRC2:TIDIG_COMP_CNT: 0
	.text
	.p2alignl 7, 3214868480
	.fill 96, 4, 3214868480
	.type	__hip_cuid_88afbf1d5144adb4,@object ; @__hip_cuid_88afbf1d5144adb4
	.section	.bss,"aw",@nobits
	.globl	__hip_cuid_88afbf1d5144adb4
__hip_cuid_88afbf1d5144adb4:
	.byte	0                               ; 0x0
	.size	__hip_cuid_88afbf1d5144adb4, 1

	.ident	"AMD clang version 19.0.0git (https://github.com/RadeonOpenCompute/llvm-project roc-6.4.0 25133 c7fe45cf4b819c5991fe208aaa96edf142730f1d)"
	.section	".note.GNU-stack","",@progbits
	.addrsig
	.addrsig_sym __hip_cuid_88afbf1d5144adb4
	.amdgpu_metadata
---
amdhsa.kernels:
  - .args:
      - .actual_access:  read_only
        .address_space:  global
        .offset:         0
        .size:           8
        .value_kind:     global_buffer
      - .offset:         8
        .size:           8
        .value_kind:     by_value
      - .actual_access:  read_only
        .address_space:  global
        .offset:         16
        .size:           8
        .value_kind:     global_buffer
      - .actual_access:  read_only
        .address_space:  global
        .offset:         24
        .size:           8
        .value_kind:     global_buffer
      - .offset:         32
        .size:           8
        .value_kind:     by_value
      - .actual_access:  read_only
        .address_space:  global
        .offset:         40
        .size:           8
        .value_kind:     global_buffer
      - .actual_access:  read_only
        .address_space:  global
        .offset:         48
        .size:           8
        .value_kind:     global_buffer
      - .offset:         56
        .size:           4
        .value_kind:     by_value
      - .actual_access:  read_only
        .address_space:  global
        .offset:         64
        .size:           8
        .value_kind:     global_buffer
      - .actual_access:  read_only
        .address_space:  global
        .offset:         72
        .size:           8
        .value_kind:     global_buffer
      - .address_space:  global
        .offset:         80
        .size:           8
        .value_kind:     global_buffer
    .group_segment_fixed_size: 0
    .kernarg_segment_align: 8
    .kernarg_segment_size: 88
    .language:       OpenCL C
    .language_version:
      - 2
      - 0
    .max_flat_workgroup_size: 55
    .name:           fft_rtc_fwd_len1925_factors_7_11_5_5_wgs_55_tpt_55_halfLds_sp_ip_CI_unitstride_sbrr_dirReg
    .private_segment_fixed_size: 0
    .sgpr_count:     23
    .sgpr_spill_count: 0
    .symbol:         fft_rtc_fwd_len1925_factors_7_11_5_5_wgs_55_tpt_55_halfLds_sp_ip_CI_unitstride_sbrr_dirReg.kd
    .uniform_work_group_size: 1
    .uses_dynamic_stack: false
    .vgpr_count:     199
    .vgpr_spill_count: 0
    .wavefront_size: 32
    .workgroup_processor_mode: 1
amdhsa.target:   amdgcn-amd-amdhsa--gfx1100
amdhsa.version:
  - 1
  - 2
...

	.end_amdgpu_metadata
